;; amdgpu-corpus repo=ROCm/rocFFT kind=compiled arch=gfx1030 opt=O3
	.text
	.amdgcn_target "amdgcn-amd-amdhsa--gfx1030"
	.amdhsa_code_object_version 6
	.protected	fft_rtc_back_len336_factors_7_16_3_wgs_126_tpt_21_dim3_dp_op_CI_CI_sbcc_twdbase8_3step_dirReg_intrinsicReadWrite ; -- Begin function fft_rtc_back_len336_factors_7_16_3_wgs_126_tpt_21_dim3_dp_op_CI_CI_sbcc_twdbase8_3step_dirReg_intrinsicReadWrite
	.globl	fft_rtc_back_len336_factors_7_16_3_wgs_126_tpt_21_dim3_dp_op_CI_CI_sbcc_twdbase8_3step_dirReg_intrinsicReadWrite
	.p2align	8
	.type	fft_rtc_back_len336_factors_7_16_3_wgs_126_tpt_21_dim3_dp_op_CI_CI_sbcc_twdbase8_3step_dirReg_intrinsicReadWrite,@function
fft_rtc_back_len336_factors_7_16_3_wgs_126_tpt_21_dim3_dp_op_CI_CI_sbcc_twdbase8_3step_dirReg_intrinsicReadWrite: ; @fft_rtc_back_len336_factors_7_16_3_wgs_126_tpt_21_dim3_dp_op_CI_CI_sbcc_twdbase8_3step_dirReg_intrinsicReadWrite
; %bb.0:
	s_load_dwordx4 s[0:3], s[4:5], 0x10
	s_mov_b64 s[26:27], 0
	s_waitcnt lgkmcnt(0)
	s_load_dwordx2 s[16:17], s[0:1], 0x8
	s_waitcnt lgkmcnt(0)
	s_add_u32 s7, s16, -1
	s_addc_u32 s8, s17, -1
	s_add_u32 s9, 0, 0xaaa80000
	s_addc_u32 s10, 0, 0xaa
	s_mul_hi_u32 s12, s9, -6
	s_add_i32 s10, s10, 0x2aaaaa00
	s_sub_i32 s12, s12, s9
	s_mul_i32 s14, s10, -6
	s_mul_i32 s11, s9, -6
	s_add_i32 s12, s12, s14
	s_mul_hi_u32 s13, s9, s11
	s_mul_i32 s18, s9, s12
	s_mul_hi_u32 s14, s9, s12
	s_mul_hi_u32 s15, s10, s11
	s_mul_i32 s11, s10, s11
	s_add_u32 s13, s13, s18
	s_addc_u32 s14, 0, s14
	s_mul_hi_u32 s19, s10, s12
	s_add_u32 s11, s13, s11
	s_mul_i32 s12, s10, s12
	s_addc_u32 s11, s14, s15
	s_addc_u32 s13, s19, 0
	s_add_u32 s11, s11, s12
	v_add_co_u32 v1, s9, s9, s11
	s_addc_u32 s11, 0, s13
	s_cmp_lg_u32 s9, 0
	s_addc_u32 s9, s10, s11
	v_readfirstlane_b32 s10, v1
	s_mul_i32 s12, s7, s9
	s_mul_hi_u32 s11, s7, s9
	s_mul_hi_u32 s13, s8, s9
	s_mul_i32 s9, s8, s9
	s_mul_hi_u32 s14, s7, s10
	s_mul_hi_u32 s15, s8, s10
	s_mul_i32 s10, s8, s10
	s_add_u32 s12, s14, s12
	s_addc_u32 s11, 0, s11
	s_add_u32 s10, s12, s10
	s_addc_u32 s10, s11, s15
	s_addc_u32 s11, s13, 0
	s_add_u32 s9, s10, s9
	s_addc_u32 s10, 0, s11
	s_mul_i32 s12, s9, 6
	s_add_u32 s11, s9, 1
	v_sub_co_u32 v1, s7, s7, s12
	s_mul_hi_u32 s12, s9, 6
	s_addc_u32 s13, s10, 0
	s_mul_i32 s14, s10, 6
	v_sub_co_u32 v2, s15, v1, 6
	s_add_u32 s18, s9, 2
	s_addc_u32 s19, s10, 0
	s_add_i32 s12, s12, s14
	s_cmp_lg_u32 s7, 0
	v_readfirstlane_b32 s7, v2
	s_subb_u32 s8, s8, s12
	s_cmp_lg_u32 s15, 0
	s_subb_u32 s12, s8, 0
	s_cmp_gt_u32 s7, 5
	s_cselect_b32 s7, -1, 0
	s_cmp_eq_u32 s12, 0
	v_readfirstlane_b32 s12, v1
	s_cselect_b32 s7, s7, -1
	s_cmp_lg_u32 s7, 0
	s_cselect_b32 s11, s18, s11
	s_cselect_b32 s13, s19, s13
	s_cmp_gt_u32 s12, 5
	s_cselect_b32 s7, -1, 0
	s_cmp_eq_u32 s8, 0
	s_cselect_b32 s7, s7, -1
	s_cmp_lg_u32 s7, 0
	s_mov_b32 s7, 0
	s_cselect_b32 s8, s11, s9
	s_cselect_b32 s9, s13, s10
	s_add_u32 s10, s8, 1
	s_addc_u32 s11, s9, 0
	v_cmp_lt_u64_e64 s8, s[6:7], s[10:11]
	s_and_b32 vcc_lo, exec_lo, s8
	s_cbranch_vccnz .LBB0_2
; %bb.1:
	v_cvt_f32_u32_e32 v1, s10
	s_sub_i32 s9, 0, s10
	s_mov_b32 s27, s7
	v_rcp_iflag_f32_e32 v1, v1
	v_mul_f32_e32 v1, 0x4f7ffffe, v1
	v_cvt_u32_f32_e32 v1, v1
	v_readfirstlane_b32 s8, v1
	s_mul_i32 s9, s9, s8
	s_mul_hi_u32 s9, s8, s9
	s_add_i32 s8, s8, s9
	s_mul_hi_u32 s8, s6, s8
	s_mul_i32 s9, s8, s10
	s_add_i32 s12, s8, 1
	s_sub_i32 s9, s6, s9
	s_sub_i32 s13, s9, s10
	s_cmp_ge_u32 s9, s10
	s_cselect_b32 s8, s12, s8
	s_cselect_b32 s9, s13, s9
	s_add_i32 s12, s8, 1
	s_cmp_ge_u32 s9, s10
	s_cselect_b32 s26, s12, s8
.LBB0_2:
	s_load_dwordx2 s[22:23], s[0:1], 0x10
	s_clause 0x1
	s_load_dwordx2 s[24:25], s[4:5], 0x20
	s_load_dwordx2 s[8:9], s[4:5], 0x58
	s_load_dwordx4 s[12:15], s[2:3], 0x0
	s_mov_b64 s[20:21], s[26:27]
	s_waitcnt lgkmcnt(0)
	v_cmp_lt_u64_e64 s0, s[26:27], s[22:23]
	s_and_b32 vcc_lo, exec_lo, s0
	s_cbranch_vccnz .LBB0_4
; %bb.3:
	v_cvt_f32_u32_e32 v1, s22
	s_sub_i32 s1, 0, s22
	v_rcp_iflag_f32_e32 v1, v1
	v_mul_f32_e32 v1, 0x4f7ffffe, v1
	v_cvt_u32_f32_e32 v1, v1
	v_readfirstlane_b32 s0, v1
	s_mul_i32 s1, s1, s0
	s_mul_hi_u32 s1, s0, s1
	s_add_i32 s0, s0, s1
	s_mul_hi_u32 s0, s26, s0
	s_mul_i32 s0, s0, s22
	s_sub_i32 s0, s26, s0
	s_sub_i32 s1, s0, s22
	s_cmp_ge_u32 s0, s22
	s_cselect_b32 s0, s1, s0
	s_sub_i32 s1, s0, s22
	s_cmp_ge_u32 s0, s22
	s_cselect_b32 s20, s1, s0
.LBB0_4:
	s_load_dwordx2 s[18:19], s[4:5], 0x0
	s_load_dwordx2 s[0:1], s[2:3], 0x10
	s_mul_i32 s13, s22, s11
	s_waitcnt lgkmcnt(0)
	s_mul_hi_u32 s1, s22, s10
	s_mul_i32 s28, s22, s10
	s_add_i32 s1, s1, s13
	s_mul_i32 s13, s23, s10
	s_mov_b64 s[22:23], 0
	s_add_i32 s29, s1, s13
	v_cmp_lt_u64_e64 s1, s[6:7], s[28:29]
	s_and_b32 vcc_lo, exec_lo, s1
	s_cbranch_vccnz .LBB0_6
; %bb.5:
	v_cvt_f32_u32_e32 v1, s28
	s_sub_i32 s7, 0, s28
	v_rcp_iflag_f32_e32 v1, v1
	v_mul_f32_e32 v1, 0x4f7ffffe, v1
	v_cvt_u32_f32_e32 v1, v1
	v_readfirstlane_b32 s1, v1
	s_mul_i32 s7, s7, s1
	s_mul_hi_u32 s7, s1, s7
	s_add_i32 s1, s1, s7
	s_mul_hi_u32 s1, s6, s1
	s_mul_i32 s7, s1, s28
	s_add_i32 s13, s1, 1
	s_sub_i32 s7, s6, s7
	s_sub_i32 s15, s7, s28
	s_cmp_ge_u32 s7, s28
	s_cselect_b32 s1, s13, s1
	s_cselect_b32 s7, s15, s7
	s_add_i32 s13, s1, 1
	s_cmp_ge_u32 s7, s28
	s_cselect_b32 s22, s13, s1
.LBB0_6:
	v_mul_u32_u24_e32 v1, 0x2aab, v0
	s_load_dword s1, s[2:3], 0x18
	s_mul_i32 s2, s26, s11
	s_mul_hi_u32 s3, s26, s10
	s_mul_i32 s7, s26, s10
	v_lshrrev_b32_e32 v75, 16, v1
	s_add_i32 s3, s3, s2
	s_sub_u32 s2, s6, s7
	s_subb_u32 s3, 0, s3
	s_mul_i32 s23, s2, 6
	v_mul_lo_u16 v1, v75, 6
	v_or_b32_e32 v3, 0xc0, v75
	s_mul_i32 s0, s0, s20
	s_mul_hi_u32 s6, s2, 6
	s_mul_i32 s3, s3, 6
	v_sub_nc_u16 v1, v0, v1
	s_mul_i32 s2, s14, s23
	v_add_nc_u32_e32 v4, 0xf0, v75
	s_add_i32 s6, s6, s3
	s_add_i32 s0, s0, s2
	v_and_b32_e32 v83, 0xffff, v1
	v_or_b32_e32 v1, 0x60, v75
	s_waitcnt lgkmcnt(0)
	s_mul_i32 s1, s1, s22
	v_mul_lo_u32 v3, s12, v3
	v_mul_lo_u32 v7, s12, v4
	v_add_co_u32 v73, s2, s23, v83
	v_add_co_ci_u32_e64 v74, null, s6, 0, s2
	v_mul_lo_u32 v41, s14, v83
	v_mul_lo_u32 v1, s12, v1
	s_add_i32 s2, s1, s0
	v_add_nc_u32_e32 v28, 0xa5, v75
	s_add_u32 s0, s23, 6
	s_addc_u32 s1, s6, 0
	v_cmp_gt_u64_e32 vcc_lo, s[16:17], v[73:74]
	v_cmp_le_u64_e64 s21, s[0:1], s[16:17]
	v_mul_lo_u32 v42, s12, v28
	v_cmp_gt_u32_e64 s0, 36, v0
	v_add_nc_u32_e32 v29, 0xd5, v75
	v_add_lshl_u32 v8, v41, v1, 4
	v_add_lshl_u32 v9, v41, v3, 4
	;; [unrolled: 1-line block ×3, first 2 shown]
	v_cmp_lt_u32_e64 s1, 35, v0
	v_cndmask_b32_e64 v82, 0, 1, vcc_lo
	s_or_b32 vcc_lo, s21, vcc_lo
	v_cndmask_b32_e64 v44, 0, 1, s0
	v_mul_lo_u32 v43, s12, v29
	v_add_nc_u32_e32 v2, 48, v75
	v_or_b32_e32 v6, 0x120, v75
	v_cndmask_b32_e32 v17, -1, v8, vcc_lo
	v_cndmask_b32_e32 v8, -1, v9, vcc_lo
	v_add_nc_u32_e32 v9, 0x135, v75
	v_add_nc_u32_e32 v10, 0x45, v75
	;; [unrolled: 1-line block ×4, first 2 shown]
	v_cndmask_b32_e32 v11, -1, v7, vcc_lo
	v_add_nc_u32_e32 v7, 0x75, v75
	v_add_nc_u32_e32 v12, 0x105, v75
	v_add_lshl_u32 v58, v41, v42, 4
	v_add_nc_u32_e32 v42, 0x14a, v75
	s_or_b32 s1, s1, s21
	v_add_nc_u32_e32 v46, 0x11a, v75
	v_add_nc_u32_e32 v47, 0x8a, v75
	v_cndmask_b32_e64 v44, v82, v44, s1
	v_mul_lo_u32 v2, s12, v2
	v_mul_lo_u32 v6, s12, v6
	;; [unrolled: 1-line block ×9, first 2 shown]
	v_add_lshl_u32 v59, v41, v43, 4
	v_mul_lo_u32 v43, s12, v46
	v_mul_lo_u32 v46, s12, v47
	v_and_b32_e32 v44, 1, v44
	v_add_lshl_u32 v2, v41, v2, 4
	v_add_lshl_u32 v6, v41, v6, 4
	;; [unrolled: 1-line block ×5, first 2 shown]
	v_cmp_eq_u32_e64 s1, 1, v44
	v_add_lshl_u32 v5, v41, v5, 4
	v_add_lshl_u32 v25, v41, v18, 4
	;; [unrolled: 1-line block ×6, first 2 shown]
	v_cndmask_b32_e32 v2, -1, v2, vcc_lo
	v_cndmask_b32_e32 v15, -1, v6, vcc_lo
	;; [unrolled: 1-line block ×4, first 2 shown]
	v_add_nc_u32_e32 v47, 0xba, v75
	v_add_nc_u32_e32 v48, 0xea, v75
	v_cndmask_b32_e64 v45, -1, v45, s1
	v_cndmask_b32_e32 v20, -1, v5, vcc_lo
	v_cndmask_b32_e32 v34, -1, v25, vcc_lo
	;; [unrolled: 1-line block ×3, first 2 shown]
	v_cndmask_b32_e64 v46, -1, v42, s1
	v_cndmask_b32_e64 v50, -1, v43, s1
	s_mov_b32 s11, 0x31014000
	s_lshl_b32 s2, s2, 4
	s_mov_b32 s10, -2
	v_cndmask_b32_e64 v54, -1, v44, s1
	s_clause 0x9
	buffer_load_dwordx4 v[1:4], v2, s[8:11], s2 offen
	buffer_load_dwordx4 v[5:8], v8, s[8:11], s2 offen
	;; [unrolled: 1-line block ×10, first 2 shown]
	v_mul_lo_u32 v60, s12, v47
	v_mul_lo_u32 v61, s12, v48
	s_clause 0x3
	buffer_load_dwordx4 v[42:45], v45, s[8:11], s2 offen
	buffer_load_dwordx4 v[46:49], v46, s[8:11], s2 offen
	buffer_load_dwordx4 v[50:53], v50, s[8:11], s2 offen
	buffer_load_dwordx4 v[54:57], v54, s[8:11], s2 offen
	v_cndmask_b32_e32 v58, -1, v58, vcc_lo
	v_cndmask_b32_e32 v62, -1, v59, vcc_lo
	v_add_nc_u32_e32 v84, 21, v75
	v_add_nc_u32_e32 v85, 42, v75
	s_mov_b32 s16, 0xe976ee23
	v_add_lshl_u32 v66, v41, v60, 4
	v_add_lshl_u32 v67, v41, v61, 4
	s_clause 0x1
	buffer_load_dwordx4 v[58:61], v58, s[8:11], s2 offen
	buffer_load_dwordx4 v[62:65], v62, s[8:11], s2 offen
	v_mul_lo_u32 v71, s12, v84
	v_mul_lo_u32 v72, s12, v85
	v_cndmask_b32_e64 v66, -1, v66, s1
	v_cndmask_b32_e64 v70, -1, v67, s1
	s_clause 0x1
	buffer_load_dwordx4 v[66:69], v66, s[8:11], s2 offen
	buffer_load_dwordx4 v[76:79], v70, s[8:11], s2 offen
	v_mul_lo_u32 v70, s12, v75
	v_add_lshl_u32 v71, v41, v71, 4
	s_mov_b32 s17, 0x3fe11646
	s_mov_b32 s6, 0xb247c609
	;; [unrolled: 1-line block ×4, first 2 shown]
	v_cndmask_b32_e32 v71, -1, v71, vcc_lo
	s_mov_b32 s7, 0xbfd5d0dc
	v_add_lshl_u32 v70, v41, v70, 4
	v_add_lshl_u32 v41, v41, v72, 4
	s_mov_b32 s15, 0x3fac98ee
	s_mov_b32 s27, 0x3fe948f6
	;; [unrolled: 1-line block ×3, first 2 shown]
	v_cndmask_b32_e32 v70, -1, v70, vcc_lo
	v_cndmask_b32_e64 v41, -1, v41, s1
	s_clause 0x2
	buffer_load_dwordx4 v[86:89], v70, s[8:11], s2 offen
	buffer_load_dwordx4 v[90:93], v71, s[8:11], s2 offen
	;; [unrolled: 1-line block ×3, first 2 shown]
	s_mov_b32 s8, 0x429ad128
	s_mov_b32 s9, 0xbfebfeb5
	;; [unrolled: 1-line block ×11, first 2 shown]
	s_waitcnt vmcnt(17)
	v_add_f64 v[70:71], v[1:2], v[13:14]
	v_add_f64 v[80:81], v[3:4], v[15:16]
	v_add_f64 v[1:2], v[1:2], -v[13:14]
	v_add_f64 v[3:4], v[3:4], -v[15:16]
	s_waitcnt vmcnt(16)
	v_add_f64 v[13:14], v[21:22], v[9:10]
	v_add_f64 v[15:16], v[23:24], v[11:12]
	v_add_f64 v[11:12], v[23:24], -v[11:12]
	s_waitcnt vmcnt(12)
	v_add_f64 v[23:24], v[37:38], v[29:30]
	v_add_f64 v[98:99], v[39:40], v[31:32]
	s_waitcnt vmcnt(11)
	v_add_f64 v[100:101], v[33:34], v[25:26]
	v_add_f64 v[102:103], v[35:36], v[27:28]
	;; [unrolled: 3-line block ×4, first 2 shown]
	v_add_f64 v[9:10], v[21:22], -v[9:10]
	v_add_f64 v[21:22], v[17:18], v[5:6]
	v_add_f64 v[112:113], v[19:20], v[7:8]
	v_add_f64 v[5:6], v[5:6], -v[17:18]
	v_add_f64 v[7:8], v[7:8], -v[19:20]
	;; [unrolled: 1-line block ×6, first 2 shown]
	s_waitcnt vmcnt(5)
	v_add_f64 v[29:30], v[58:59], v[62:63]
	v_add_f64 v[31:32], v[60:61], v[64:65]
	v_add_f64 v[33:34], v[62:63], -v[58:59]
	v_add_f64 v[35:36], v[64:65], -v[60:61]
	;; [unrolled: 1-line block ×5, first 2 shown]
	s_waitcnt vmcnt(3)
	v_add_f64 v[43:44], v[66:67], v[76:77]
	v_add_f64 v[45:46], v[68:69], v[78:79]
	;; [unrolled: 1-line block ×8, first 2 shown]
	v_add_f64 v[51:52], v[56:57], -v[52:53]
	v_add_f64 v[64:65], v[76:77], -v[66:67]
	;; [unrolled: 1-line block ×16, first 2 shown]
	v_add_f64 v[47:48], v[21:22], v[47:48]
	v_add_f64 v[49:50], v[112:113], v[49:50]
	;; [unrolled: 1-line block ×6, first 2 shown]
	v_add_f64 v[21:22], v[9:10], -v[1:2]
	v_add_f64 v[31:32], v[7:8], -v[11:12]
	v_add_f64 v[53:54], v[11:12], -v[3:4]
	v_add_f64 v[13:14], v[5:6], v[9:10]
	v_add_f64 v[5:6], v[1:2], -v[5:6]
	v_add_f64 v[29:30], v[7:8], v[11:12]
	v_add_f64 v[7:8], v[3:4], -v[7:8]
	;; [unrolled: 2-line block ×3, first 2 shown]
	v_add_f64 v[130:131], v[25:26], -v[17:18]
	v_add_f64 v[25:26], v[35:36], v[27:28]
	v_add_f64 v[132:133], v[108:109], -v[104:105]
	v_add_f64 v[104:105], v[104:105], -v[43:44]
	;; [unrolled: 1-line block ×3, first 2 shown]
	v_add_f64 v[108:109], v[64:65], v[41:42]
	v_add_f64 v[33:34], v[17:18], -v[33:34]
	s_waitcnt vmcnt(2)
	v_add_f64 v[55:56], v[86:87], v[47:48]
	v_add_f64 v[57:58], v[88:89], v[49:50]
	s_waitcnt vmcnt(1)
	v_add_f64 v[59:60], v[90:91], v[112:113]
	v_add_f64 v[61:62], v[92:93], v[120:121]
	;; [unrolled: 3-line block ×3, first 2 shown]
	v_add_f64 v[86:87], v[110:111], -v[106:107]
	v_add_f64 v[88:89], v[106:107], -v[45:46]
	v_add_f64 v[90:91], v[66:67], v[51:52]
	v_add_f64 v[45:46], v[45:46], -v[110:111]
	v_add_f64 v[92:93], v[35:36], -v[27:28]
	;; [unrolled: 1-line block ×3, first 2 shown]
	v_mul_f64 v[94:95], v[15:16], s[16:17]
	v_mul_f64 v[96:97], v[21:22], s[8:9]
	;; [unrolled: 1-line block ×4, first 2 shown]
	v_add_f64 v[35:36], v[19:20], -v[35:36]
	v_add_f64 v[1:2], v[13:14], v[1:2]
	v_add_f64 v[3:4], v[29:30], v[3:4]
	v_add_f64 v[29:30], v[64:65], -v[41:42]
	v_add_f64 v[106:107], v[126:127], v[17:18]
	v_add_f64 v[41:42], v[41:42], -v[37:38]
	;; [unrolled: 2-line block ×3, first 2 shown]
	v_add_f64 v[15:16], v[37:38], -v[64:65]
	v_add_f64 v[13:14], v[108:109], v[37:38]
	v_mul_f64 v[25:26], v[76:77], s[14:15]
	v_mul_f64 v[37:38], v[70:71], s[26:27]
	v_add_f64 v[51:52], v[66:67], -v[51:52]
	v_add_f64 v[17:18], v[39:40], -v[66:67]
	v_add_f64 v[19:20], v[90:91], v[39:40]
	v_mul_f64 v[39:40], v[114:115], s[14:15]
	v_mul_f64 v[63:64], v[80:81], s[26:27]
	;; [unrolled: 1-line block ×3, first 2 shown]
	v_fma_f64 v[70:71], v[21:22], s[8:9], -v[94:95]
	v_fma_f64 v[80:81], v[5:6], s[10:11], -v[96:97]
	v_fma_f64 v[5:6], v[5:6], s[6:7], v[94:95]
	v_mul_f64 v[90:91], v[130:131], s[8:9]
	v_mul_f64 v[92:93], v[92:93], s[16:17]
	v_fma_f64 v[94:95], v[53:54], s[8:9], -v[31:32]
	v_fma_f64 v[96:97], v[7:8], s[10:11], -v[110:111]
	v_fma_f64 v[7:8], v[7:8], s[6:7], v[31:32]
	v_mul_f64 v[31:32], v[27:28], s[8:9]
	v_mul_f64 v[53:54], v[100:101], s[14:15]
	;; [unrolled: 1-line block ×4, first 2 shown]
	v_fma_f64 v[112:113], v[112:113], s[2:3], v[59:60]
	v_fma_f64 v[120:121], v[120:121], s[2:3], v[61:62]
	v_fma_f64 v[108:109], v[68:69], s[12:13], -v[25:26]
	v_fma_f64 v[67:68], v[68:69], s[30:31], -v[37:38]
	v_fma_f64 v[37:38], v[76:77], s[14:15], v[37:38]
	v_mul_f64 v[76:77], v[23:24], s[26:27]
	v_mul_f64 v[23:24], v[88:89], s[26:27]
	v_fma_f64 v[110:111], v[78:79], s[12:13], -v[39:40]
	v_fma_f64 v[78:79], v[78:79], s[30:31], -v[63:64]
	v_fma_f64 v[63:64], v[114:115], s[14:15], v[63:64]
	v_mul_f64 v[39:40], v[102:103], s[14:15]
	v_mul_f64 v[25:26], v[29:30], s[16:17]
	v_fma_f64 v[88:89], v[130:131], s[8:9], -v[65:66]
	v_fma_f64 v[90:91], v[33:34], s[10:11], -v[90:91]
	v_fma_f64 v[33:34], v[33:34], s[6:7], v[65:66]
	v_mul_f64 v[65:66], v[41:42], s[8:9]
	v_fma_f64 v[104:105], v[27:28], s[8:9], -v[92:93]
	v_fma_f64 v[92:93], v[35:36], s[6:7], v[92:93]
	v_fma_f64 v[114:115], v[35:36], s[10:11], -v[31:32]
	v_mul_f64 v[35:36], v[134:135], s[8:9]
	v_mul_f64 v[27:28], v[51:52], s[16:17]
	;; [unrolled: 1-line block ×4, first 2 shown]
	v_fma_f64 v[45:46], v[116:117], s[12:13], -v[53:54]
	v_fma_f64 v[43:44], v[47:48], s[2:3], v[55:56]
	v_fma_f64 v[47:48], v[49:50], s[2:3], v[57:58]
	v_fma_f64 v[69:70], v[1:2], s[28:29], v[70:71]
	v_fma_f64 v[51:52], v[116:117], s[30:31], -v[76:77]
	v_fma_f64 v[76:77], v[100:101], s[14:15], v[76:77]
	v_fma_f64 v[116:117], v[118:119], s[30:31], -v[98:99]
	v_fma_f64 v[98:99], v[102:103], s[14:15], v[98:99]
	v_fma_f64 v[102:103], v[132:133], s[30:31], -v[21:22]
	v_fma_f64 v[100:101], v[118:119], s[12:13], -v[39:40]
	v_fma_f64 v[71:72], v[1:2], s[28:29], v[80:81]
	v_fma_f64 v[1:2], v[1:2], s[28:29], v[5:6]
	v_fma_f64 v[5:6], v[86:87], s[30:31], -v[23:24]
	v_fma_f64 v[41:42], v[41:42], s[8:9], -v[25:26]
	;; [unrolled: 1-line block ×3, first 2 shown]
	v_fma_f64 v[39:40], v[124:125], s[2:3], v[11:12]
	v_fma_f64 v[94:95], v[3:4], s[28:29], v[94:95]
	;; [unrolled: 1-line block ×3, first 2 shown]
	v_fma_f64 v[65:66], v[17:18], s[10:11], -v[35:36]
	v_fma_f64 v[80:81], v[134:135], s[8:9], -v[27:28]
	v_fma_f64 v[118:119], v[132:133], s[12:13], -v[29:30]
	v_fma_f64 v[86:87], v[86:87], s[12:13], -v[31:32]
	v_fma_f64 v[35:36], v[122:123], s[2:3], v[9:10]
	v_fma_f64 v[3:4], v[3:4], s[28:29], v[7:8]
	;; [unrolled: 1-line block ×6, first 2 shown]
	v_add_f64 v[88:89], v[108:109], v[43:44]
	v_add_f64 v[90:91], v[110:111], v[47:48]
	v_fma_f64 v[110:111], v[126:127], s[28:29], v[114:115]
	v_fma_f64 v[124:125], v[126:127], s[28:29], v[92:93]
	v_add_f64 v[92:93], v[67:68], v[43:44]
	v_add_f64 v[106:107], v[78:79], v[47:48]
	v_add_f64 v[108:109], v[37:38], v[43:44]
	v_fma_f64 v[33:34], v[13:14], s[28:29], v[41:42]
	v_fma_f64 v[41:42], v[13:14], s[28:29], v[49:50]
	v_add_f64 v[114:115], v[63:64], v[47:48]
	;; [unrolled: 5-line block ×3, first 2 shown]
	v_add_f64 v[51:52], v[5:6], v[39:40]
	v_add_f64 v[49:50], v[102:103], v[35:36]
	v_add_f64 v[45:46], v[118:119], v[35:36]
	v_add_f64 v[47:48], v[86:87], v[39:40]
	v_add_f64 v[116:117], v[116:117], v[120:121]
	v_add_f64 v[132:133], v[76:77], v[112:113]
	v_add_f64 v[120:121], v[98:99], v[120:121]
	v_add_f64 v[63:64], v[88:89], -v[94:95]
	v_add_f64 v[65:66], v[69:70], v[90:91]
	v_add_f64 v[67:68], v[94:95], v[88:89]
	v_add_f64 v[69:70], v[90:91], -v[69:70]
	v_add_f64 v[76:77], v[96:97], v[92:93]
	v_add_f64 v[86:87], v[92:93], -v[96:97]
	v_add_f64 v[90:91], v[3:4], v[108:109]
	v_add_f64 v[94:95], v[108:109], -v[3:4]
	v_add_f64 v[78:79], v[106:107], -v[71:72]
	v_add_f64 v[92:93], v[114:115], -v[1:2]
	v_add_f64 v[96:97], v[1:2], v[114:115]
	v_add_f64 v[100:101], v[7:8], v[126:127]
	s_load_dwordx2 s[16:17], s[4:5], 0x60
	v_add_f64 v[88:89], v[71:72], v[106:107]
	v_add_f64 v[98:99], v[80:81], -v[104:105]
	v_add_f64 v[102:103], v[104:105], v[80:81]
	v_add_f64 v[104:105], v[126:127], -v[7:8]
	;; [unrolled: 2-line block ×3, first 2 shown]
	v_add_f64 v[5:6], v[45:46], -v[37:38]
	v_add_f64 v[7:8], v[33:34], v[47:48]
	s_load_dwordx8 s[8:15], s[24:25], 0x0
	v_add_f64 v[108:109], v[116:117], -v[128:129]
	v_add_f64 v[112:113], v[128:129], v[116:117]
	v_add_f64 v[114:115], v[124:125], v[132:133]
	v_add_f64 v[116:117], v[120:121], -v[122:123]
	v_add_f64 v[106:107], v[110:111], v[130:131]
	v_add_f64 v[110:111], v[130:131], -v[110:111]
	v_add_f64 v[118:119], v[132:133], -v[124:125]
	v_add_f64 v[120:121], v[122:123], v[120:121]
	v_mad_u32_u24 v54, 0x2a0, v75, 0
	v_lshlrev_b32_e32 v53, 4, v83
	v_add_nc_u32_e32 v71, v54, v53
	v_add_nc_u32_e32 v54, 0x3720, v54
	ds_write_b128 v71, v[55:58]
	ds_write_b128 v71, v[90:93] offset:96
	ds_write_b128 v71, v[76:79] offset:192
	v_add_nc_u32_e32 v55, v54, v53
	ds_write_b128 v71, v[63:66] offset:288
	ds_write_b128 v71, v[67:70] offset:384
	;; [unrolled: 1-line block ×4, first 2 shown]
	ds_write_b128 v55, v[59:62]
	ds_write_b128 v55, v[114:117] offset:96
	ds_write_b128 v55, v[106:109] offset:192
	;; [unrolled: 1-line block ×6, first 2 shown]
	s_and_saveexec_b32 s1, s0
	s_cbranch_execz .LBB0_8
; %bb.7:
	v_mul_f64 v[15:16], v[15:16], s[6:7]
	v_mul_f64 v[17:18], v[17:18], s[6:7]
	;; [unrolled: 1-line block ×4, first 2 shown]
	v_add_f64 v[23:24], v[31:32], v[23:24]
	v_add_f64 v[21:22], v[29:30], v[21:22]
	;; [unrolled: 1-line block ×8, first 2 shown]
	v_add_f64 v[19:20], v[47:48], -v[33:34]
	v_add_f64 v[17:18], v[37:38], v[45:46]
	v_add_f64 v[15:16], v[41:42], v[51:52]
	v_add_f64 v[13:14], v[49:50], -v[43:44]
	v_add_f64 v[23:24], v[27:28], v[25:26]
	v_add_f64 v[27:28], v[25:26], -v[27:28]
	;; [unrolled: 2-line block ×3, first 2 shown]
	v_lshl_add_u32 v29, v83, 4, v54
	ds_write_b128 v29, v[9:12] offset:14112
	ds_write_b128 v29, v[1:4] offset:14304
	;; [unrolled: 1-line block ×7, first 2 shown]
.LBB0_8:
	s_or_b32 exec_lo, exec_lo, s1
	v_mul_lo_u16 v25, v75, 37
	v_mul_u32_u24_e32 v9, 0x60, v75
	v_mov_b32_e32 v31, 15
	s_waitcnt lgkmcnt(0)
	s_barrier
	v_lshrrev_b16 v26, 8, v25
	v_add3_u32 v74, 0, v9, v53
	buffer_gl0_inv
	s_mov_b32 s0, 0x667f3bcd
	s_mov_b32 s1, 0xbfe6a09e
	v_mul_lo_u16 v25, v26, 7
	v_add_nc_u32_e32 v33, 0x1800, v74
	v_add_nc_u32_e32 v13, 0x2000, v74
	ds_read_b128 v[9:12], v74
	ds_read_b128 v[21:24], v74 offset:2016
	ds_read_b128 v[27:30], v74 offset:4032
	;; [unrolled: 1-line block ×3, first 2 shown]
	s_mov_b32 s3, 0x3fe6a09e
	v_sub_nc_u16 v25, v75, v25
	ds_read2_b64 v[38:41], v33 offset0:240 offset1:241
	ds_read2_b64 v[42:45], v13 offset0:236 offset1:237
	ds_read_b128 v[46:49], v74 offset:12096
	ds_read_b128 v[54:57], v74 offset:14112
	;; [unrolled: 1-line block ×10, first 2 shown]
	s_mov_b32 s2, s0
	s_mov_b32 s26, 0xcf328d46
	v_mul_u32_u24_sdwa v31, v25, v31 dst_sel:DWORD dst_unused:UNUSED_PAD src0_sel:BYTE_0 src1_sel:DWORD
	s_mov_b32 s27, 0xbfed906b
	s_mov_b32 s6, 0xa6aea964
	;; [unrolled: 1-line block ×4, first 2 shown]
	v_lshlrev_b32_e32 v52, 4, v31
	s_mov_b32 s24, s6
	s_mov_b32 s29, 0x3fed906b
	;; [unrolled: 1-line block ×3, first 2 shown]
	s_clause 0x3
	global_load_dwordx4 v[94:97], v52, s[18:19] offset:48
	global_load_dwordx4 v[98:101], v52, s[18:19] offset:32
	;; [unrolled: 1-line block ×3, first 2 shown]
	global_load_dwordx4 v[106:109], v52, s[18:19]
	s_waitcnt vmcnt(0) lgkmcnt(14)
	v_mul_f64 v[31:32], v[23:24], v[108:109]
	v_fma_f64 v[31:32], v[21:22], v[106:107], v[31:32]
	v_mul_f64 v[21:22], v[21:22], v[108:109]
	v_fma_f64 v[50:51], v[23:24], v[106:107], -v[21:22]
	s_waitcnt lgkmcnt(13)
	v_mul_f64 v[21:22], v[29:30], v[104:105]
	s_waitcnt lgkmcnt(12)
	v_mul_f64 v[23:24], v[34:35], v[100:101]
	v_fma_f64 v[70:71], v[27:28], v[102:103], v[21:22]
	v_mul_f64 v[21:22], v[27:28], v[104:105]
	s_waitcnt lgkmcnt(11)
	v_mul_f64 v[27:28], v[40:41], v[96:97]
	v_fma_f64 v[23:24], v[36:37], v[98:99], -v[23:24]
	v_fma_f64 v[80:81], v[29:30], v[102:103], -v[21:22]
	v_mul_f64 v[21:22], v[36:37], v[100:101]
	v_fma_f64 v[21:22], v[34:35], v[98:99], v[21:22]
	v_fma_f64 v[98:99], v[38:39], v[94:95], v[27:28]
	v_mul_f64 v[27:28], v[38:39], v[96:97]
	v_fma_f64 v[100:101], v[40:41], v[94:95], -v[27:28]
	s_clause 0x3
	global_load_dwordx4 v[27:30], v52, s[18:19] offset:112
	global_load_dwordx4 v[34:37], v52, s[18:19] offset:96
	;; [unrolled: 1-line block ×4, first 2 shown]
	s_waitcnt vmcnt(0) lgkmcnt(10)
	v_mul_f64 v[102:103], v[44:45], v[96:97]
	v_fma_f64 v[102:103], v[42:43], v[94:95], v[102:103]
	v_mul_f64 v[42:43], v[42:43], v[96:97]
	v_fma_f64 v[94:95], v[44:45], v[94:95], -v[42:43]
	s_waitcnt lgkmcnt(9)
	v_mul_f64 v[42:43], v[48:49], v[40:41]
	v_mul_f64 v[40:41], v[46:47], v[40:41]
	v_fma_f64 v[96:97], v[46:47], v[38:39], v[42:43]
	v_fma_f64 v[46:47], v[48:49], v[38:39], -v[40:41]
	s_waitcnt lgkmcnt(8)
	v_mul_f64 v[38:39], v[56:57], v[36:37]
	v_mul_f64 v[36:37], v[54:55], v[36:37]
	v_fma_f64 v[48:49], v[54:55], v[34:35], v[38:39]
	;; [unrolled: 5-line block ×3, first 2 shown]
	v_fma_f64 v[58:59], v[60:61], v[27:28], -v[29:30]
	s_clause 0x3
	global_load_dwordx4 v[27:30], v52, s[18:19] offset:176
	global_load_dwordx4 v[34:37], v52, s[18:19] offset:160
	;; [unrolled: 1-line block ×4, first 2 shown]
	s_waitcnt vmcnt(0) lgkmcnt(6)
	v_mul_f64 v[60:61], v[64:65], v[44:45]
	v_mul_f64 v[44:45], v[62:63], v[44:45]
	v_fma_f64 v[60:61], v[62:63], v[42:43], v[60:61]
	v_fma_f64 v[42:43], v[64:65], v[42:43], -v[44:45]
	s_waitcnt lgkmcnt(5)
	v_mul_f64 v[44:45], v[68:69], v[40:41]
	v_mul_f64 v[40:41], v[66:67], v[40:41]
	v_add_f64 v[60:61], v[31:32], -v[60:61]
	v_add_f64 v[42:43], v[50:51], -v[42:43]
	v_fma_f64 v[44:45], v[66:67], v[38:39], v[44:45]
	v_fma_f64 v[62:63], v[68:69], v[38:39], -v[40:41]
	s_waitcnt lgkmcnt(4)
	v_mul_f64 v[38:39], v[78:79], v[36:37]
	v_mul_f64 v[36:37], v[76:77], v[36:37]
	v_fma_f64 v[31:32], v[31:32], 2.0, -v[60:61]
	v_fma_f64 v[50:51], v[50:51], 2.0, -v[42:43]
	v_add_f64 v[44:45], v[70:71], -v[44:45]
	v_fma_f64 v[64:65], v[76:77], v[34:35], v[38:39]
	v_fma_f64 v[66:67], v[78:79], v[34:35], -v[36:37]
	s_waitcnt lgkmcnt(3)
	v_mul_f64 v[34:35], v[88:89], v[29:30]
	v_mul_f64 v[29:30], v[86:87], v[29:30]
	v_add_f64 v[64:65], v[21:22], -v[64:65]
	v_add_f64 v[66:67], v[23:24], -v[66:67]
	v_fma_f64 v[68:69], v[86:87], v[27:28], v[34:35]
	v_fma_f64 v[76:77], v[88:89], v[27:28], -v[29:30]
	s_clause 0x2
	global_load_dwordx4 v[27:30], v52, s[18:19] offset:224
	global_load_dwordx4 v[34:37], v52, s[18:19] offset:208
	;; [unrolled: 1-line block ×3, first 2 shown]
	s_waitcnt vmcnt(0) lgkmcnt(0)
	s_barrier
	buffer_gl0_inv
	v_fma_f64 v[21:22], v[21:22], 2.0, -v[64:65]
	v_fma_f64 v[23:24], v[23:24], 2.0, -v[66:67]
	v_mul_f64 v[78:79], v[92:93], v[40:41]
	v_mul_f64 v[40:41], v[90:91], v[40:41]
	v_fma_f64 v[78:79], v[90:91], v[38:39], v[78:79]
	v_fma_f64 v[38:39], v[92:93], v[38:39], -v[40:41]
	v_mul_f64 v[40:41], v[19:20], v[36:37]
	v_add_f64 v[38:39], v[94:95], -v[38:39]
	v_fma_f64 v[40:41], v[17:18], v[34:35], v[40:41]
	v_mul_f64 v[17:18], v[17:18], v[36:37]
	v_add_f64 v[40:41], v[96:97], -v[40:41]
	v_fma_f64 v[17:18], v[19:20], v[34:35], -v[17:18]
	v_mul_f64 v[19:20], v[15:16], v[29:30]
	v_add_f64 v[34:35], v[100:101], -v[76:77]
	v_add_f64 v[76:77], v[102:103], -v[78:79]
	;; [unrolled: 1-line block ×3, first 2 shown]
	v_fma_f64 v[19:20], v[13:14], v[27:28], v[19:20]
	v_mul_f64 v[13:14], v[13:14], v[29:30]
	v_add_f64 v[29:30], v[98:99], -v[68:69]
	v_fma_f64 v[78:79], v[102:103], 2.0, -v[76:77]
	v_add_f64 v[76:77], v[42:43], -v[76:77]
	v_fma_f64 v[46:47], v[46:47], 2.0, -v[17:18]
	v_add_f64 v[19:20], v[48:49], -v[19:20]
	v_fma_f64 v[13:14], v[15:16], v[27:28], -v[13:14]
	v_add_f64 v[27:28], v[11:12], -v[58:59]
	v_add_f64 v[58:59], v[80:81], -v[62:63]
	;; [unrolled: 1-line block ×3, first 2 shown]
	v_fma_f64 v[36:37], v[98:99], 2.0, -v[29:30]
	v_fma_f64 v[62:63], v[70:71], 2.0, -v[44:45]
	;; [unrolled: 1-line block ×4, first 2 shown]
	v_add_f64 v[17:18], v[44:45], v[17:18]
	v_add_f64 v[78:79], v[31:32], -v[78:79]
	v_fma_f64 v[42:43], v[42:43], 2.0, -v[76:77]
	v_fma_f64 v[48:49], v[48:49], 2.0, -v[19:20]
	v_add_f64 v[13:14], v[54:55], -v[13:14]
	v_add_f64 v[29:30], v[27:28], -v[29:30]
	;; [unrolled: 1-line block ×3, first 2 shown]
	v_fma_f64 v[11:12], v[11:12], 2.0, -v[27:28]
	v_fma_f64 v[68:69], v[80:81], 2.0, -v[58:59]
	v_add_f64 v[34:35], v[15:16], v[34:35]
	v_fma_f64 v[9:10], v[9:10], 2.0, -v[15:16]
	v_fma_f64 v[80:81], v[94:95], 2.0, -v[38:39]
	;; [unrolled: 1-line block ×3, first 2 shown]
	v_add_f64 v[70:71], v[62:63], -v[70:71]
	v_add_f64 v[38:39], v[60:61], v[38:39]
	v_add_f64 v[19:20], v[66:67], -v[19:20]
	v_fma_f64 v[31:32], v[31:32], 2.0, -v[78:79]
	v_add_f64 v[48:49], v[21:22], -v[48:49]
	v_fma_f64 v[54:55], v[54:55], 2.0, -v[13:14]
	v_fma_f64 v[27:28], v[27:28], 2.0, -v[29:30]
	;; [unrolled: 1-line block ×3, first 2 shown]
	v_add_f64 v[56:57], v[11:12], -v[56:57]
	v_add_f64 v[46:47], v[68:69], -v[46:47]
	v_fma_f64 v[15:16], v[15:16], 2.0, -v[34:35]
	v_add_f64 v[36:37], v[9:10], -v[36:37]
	v_add_f64 v[80:81], v[50:51], -v[80:81]
	v_add_f64 v[13:14], v[64:65], v[13:14]
	v_fma_f64 v[62:63], v[62:63], 2.0, -v[70:71]
	v_fma_f64 v[60:61], v[60:61], 2.0, -v[38:39]
	;; [unrolled: 1-line block ×4, first 2 shown]
	v_add_f64 v[54:55], v[23:24], -v[54:55]
	v_fma_f64 v[88:89], v[58:59], s[0:1], v[27:28]
	v_fma_f64 v[11:12], v[11:12], 2.0, -v[56:57]
	v_fma_f64 v[68:69], v[68:69], 2.0, -v[46:47]
	v_fma_f64 v[86:87], v[44:45], s[0:1], v[15:16]
	v_fma_f64 v[9:10], v[9:10], 2.0, -v[36:37]
	v_fma_f64 v[50:51], v[50:51], 2.0, -v[80:81]
	;; [unrolled: 1-line block ×3, first 2 shown]
	v_add_f64 v[90:91], v[36:37], v[46:47]
	v_add_f64 v[70:71], v[56:57], -v[70:71]
	v_add_f64 v[106:107], v[80:81], -v[48:49]
	;; [unrolled: 1-line block ×3, first 2 shown]
	v_fma_f64 v[23:24], v[23:24], 2.0, -v[54:55]
	v_add_f64 v[104:105], v[78:79], v[54:55]
	v_fma_f64 v[88:89], v[44:45], s[0:1], v[88:89]
	v_add_f64 v[68:69], v[11:12], -v[68:69]
	v_fma_f64 v[86:87], v[58:59], s[2:3], v[86:87]
	v_add_f64 v[62:63], v[9:10], -v[62:63]
	v_fma_f64 v[21:22], v[64:65], s[0:1], v[60:61]
	v_fma_f64 v[46:47], v[36:37], 2.0, -v[90:91]
	v_fma_f64 v[56:57], v[56:57], 2.0, -v[70:71]
	v_add_f64 v[102:103], v[50:51], -v[23:24]
	v_fma_f64 v[23:24], v[66:67], s[0:1], v[42:43]
	v_fma_f64 v[58:59], v[27:28], 2.0, -v[88:89]
	v_fma_f64 v[27:28], v[40:41], s[2:3], v[29:30]
	v_fma_f64 v[11:12], v[11:12], 2.0, -v[68:69]
	v_fma_f64 v[44:45], v[15:16], 2.0, -v[86:87]
	v_fma_f64 v[15:16], v[17:18], s[2:3], v[34:35]
	v_fma_f64 v[9:10], v[9:10], 2.0, -v[62:63]
	v_fma_f64 v[36:37], v[78:79], 2.0, -v[104:105]
	v_add_f64 v[54:55], v[62:63], v[102:103]
	v_fma_f64 v[94:95], v[17:18], s[0:1], v[27:28]
	v_fma_f64 v[17:18], v[50:51], 2.0, -v[102:103]
	v_fma_f64 v[50:51], v[64:65], s[0:1], v[23:24]
	v_fma_f64 v[92:93], v[40:41], s[2:3], v[15:16]
	v_fma_f64 v[15:16], v[31:32], 2.0, -v[100:101]
	v_fma_f64 v[31:32], v[66:67], s[2:3], v[21:22]
	;; [unrolled: 3-line block ×3, first 2 shown]
	v_fma_f64 v[21:22], v[42:43], 2.0, -v[50:51]
	v_fma_f64 v[96:97], v[34:35], 2.0, -v[92:93]
	;; [unrolled: 1-line block ×4, first 2 shown]
	v_fma_f64 v[80:81], v[19:20], s[2:3], v[27:28]
	v_fma_f64 v[108:109], v[13:14], s[0:1], v[29:30]
	v_add_f64 v[13:14], v[9:10], -v[15:16]
	v_add_f64 v[15:16], v[11:12], -v[17:18]
	v_fma_f64 v[48:49], v[38:39], 2.0, -v[80:81]
	v_fma_f64 v[42:43], v[76:77], 2.0, -v[108:109]
	;; [unrolled: 1-line block ×4, first 2 shown]
	v_fma_f64 v[9:10], v[23:24], s[26:27], v[44:45]
	v_fma_f64 v[11:12], v[21:22], s[26:27], v[58:59]
	v_fma_f64 v[21:22], v[21:22], s[6:7], v[9:10]
	v_fma_f64 v[23:24], v[23:24], s[24:25], v[11:12]
	v_fma_f64 v[9:10], v[36:37], s[0:1], v[46:47]
	v_fma_f64 v[11:12], v[34:35], s[0:1], v[56:57]
	v_fma_f64 v[27:28], v[44:45], 2.0, -v[21:22]
	v_fma_f64 v[29:30], v[58:59], 2.0, -v[23:24]
	v_fma_f64 v[34:35], v[34:35], s[2:3], v[9:10]
	v_fma_f64 v[36:37], v[36:37], s[0:1], v[11:12]
	;; [unrolled: 1-line block ×4, first 2 shown]
	v_fma_f64 v[58:59], v[62:63], 2.0, -v[54:55]
	v_fma_f64 v[38:39], v[46:47], 2.0, -v[34:35]
	;; [unrolled: 1-line block ×3, first 2 shown]
	v_fma_f64 v[42:43], v[42:43], s[28:29], v[9:10]
	v_fma_f64 v[44:45], v[48:49], s[26:27], v[11:12]
	;; [unrolled: 1-line block ×4, first 2 shown]
	v_add_f64 v[56:57], v[68:69], -v[100:101]
	v_fma_f64 v[46:47], v[96:97], 2.0, -v[42:43]
	v_fma_f64 v[48:49], v[98:99], 2.0, -v[44:45]
	v_fma_f64 v[62:63], v[50:51], s[28:29], v[9:10]
	v_fma_f64 v[64:65], v[31:32], s[26:27], v[11:12]
	v_fma_f64 v[9:10], v[104:105], s[2:3], v[90:91]
	v_fma_f64 v[11:12], v[106:107], s[2:3], v[70:71]
	v_mov_b32_e32 v31, 0x70
	v_fma_f64 v[60:61], v[68:69], 2.0, -v[56:57]
	v_mul_u32_u24_sdwa v26, v26, v31 dst_sel:DWORD dst_unused:UNUSED_PAD src0_sel:WORD_0 src1_sel:DWORD
	v_or_b32_sdwa v25, v26, v25 dst_sel:DWORD dst_unused:UNUSED_PAD src0_sel:DWORD src1_sel:BYTE_0
	v_mul_u32_u24_e32 v25, 0x60, v25
	v_fma_f64 v[66:67], v[86:87], 2.0, -v[62:63]
	v_fma_f64 v[68:69], v[88:89], 2.0, -v[64:65]
	v_fma_f64 v[76:77], v[106:107], s[2:3], v[9:10]
	v_fma_f64 v[78:79], v[104:105], s[0:1], v[11:12]
	;; [unrolled: 1-line block ×4, first 2 shown]
	v_add3_u32 v25, 0, v25, v53
	s_mov_b32 s1, exec_lo
	v_fma_f64 v[86:87], v[90:91], 2.0, -v[76:77]
	v_fma_f64 v[88:89], v[70:71], 2.0, -v[78:79]
	v_fma_f64 v[9:10], v[108:109], s[6:7], v[9:10]
	v_fma_f64 v[11:12], v[80:81], s[24:25], v[11:12]
	v_fma_f64 v[90:91], v[92:93], 2.0, -v[9:10]
	v_fma_f64 v[92:93], v[94:95], 2.0, -v[11:12]
	ds_write_b128 v25, v[17:20]
	ds_write_b128 v25, v[27:30] offset:672
	ds_write_b128 v25, v[38:41] offset:1344
	;; [unrolled: 1-line block ×15, first 2 shown]
	s_waitcnt lgkmcnt(0)
	s_barrier
	buffer_gl0_inv
	ds_read_b128 v[29:32], v74
	ds_read_b128 v[69:72], v74 offset:10752
	ds_read_b128 v[65:68], v74 offset:21504
	ds_read_b128 v[25:28], v74 offset:2016
	ds_read_b128 v[61:64], v74 offset:12768
	ds_read_b128 v[57:60], v74 offset:23520
	ds_read_b128 v[21:24], v74 offset:4032
	ds_read_b128 v[49:52], v74 offset:14784
	ds_read_b128 v[53:56], v74 offset:25536
	ds_read_b128 v[17:20], v74 offset:6048
	ds_read_b128 v[45:48], v74 offset:16800
	ds_read_b128 v[41:44], v74 offset:27552
	ds_read2_b64 v[13:16], v33 offset0:240 offset1:241
	ds_read_b128 v[37:40], v74 offset:18816
	ds_read_b128 v[33:36], v74 offset:29568
	v_cmpx_gt_u32_e32 42, v0
	s_cbranch_execz .LBB0_10
; %bb.9:
	v_add_nc_u32_e32 v1, 0x2760, v74
	ds_read2_b64 v[9:12], v1 offset1:1
	ds_read_b128 v[1:4], v74 offset:20832
	ds_read_b128 v[5:8], v74 offset:31584
.LBB0_10:
	s_or_b32 exec_lo, exec_lo, s1
	s_mul_i32 s0, s12, s20
	s_mul_i32 s1, s10, s23
	v_add_nc_u32_e32 v74, 0xffffff90, v75
	s_add_i32 s0, s0, s1
	s_mul_i32 s1, s14, s22
	v_mov_b32_e32 v80, 0
	s_add_i32 s1, s1, s0
	v_cmp_gt_u32_e64 s0, 0x2a0, v0
	v_add_nc_u32_e32 v88, 63, v75
	v_add_nc_u32_e32 v87, 0x54, v75
	;; [unrolled: 1-line block ×3, first 2 shown]
	s_load_dwordx2 s[2:3], s[4:5], 0x8
	v_cndmask_b32_e64 v92, v74, v75, s0
	s_mov_b32 s4, 0xe8584caa
	s_mov_b32 s5, 0xbfebb67a
	;; [unrolled: 1-line block ×4, first 2 shown]
	v_lshlrev_b32_e32 v79, 1, v92
	s_lshl_b32 s1, s1, 4
	v_lshlrev_b64 v[76:77], 4, v[79:80]
	v_add_co_u32 v89, s0, s18, v76
	v_add_co_ci_u32_e64 v90, s0, s19, v77, s0
	s_clause 0x1
	global_load_dwordx4 v[76:79], v[89:90], off offset:1696
	global_load_dwordx4 v[93:96], v[89:90], off offset:1680
	v_cmp_gt_u32_e64 s0, 0x222, v0
	s_waitcnt vmcnt(0) lgkmcnt(0)
	v_mul_f64 v[89:90], v[71:72], v[95:96]
	v_fma_f64 v[99:100], v[69:70], v[93:94], v[89:90]
	v_mul_f64 v[69:70], v[69:70], v[95:96]
	v_mov_b32_e32 v95, 4
	v_fma_f64 v[101:102], v[71:72], v[93:94], -v[69:70]
	v_mul_f64 v[69:70], v[67:68], v[78:79]
	v_fma_f64 v[103:104], v[65:66], v[76:77], v[69:70]
	v_mul_f64 v[65:66], v[65:66], v[78:79]
	v_fma_f64 v[76:77], v[67:68], v[76:77], -v[65:66]
	v_add_nc_u32_e32 v65, 0xffffffa5, v75
	v_cndmask_b32_e64 v98, v65, v84, s0
	v_lshlrev_b32_e32 v79, 1, v98
	v_lshlrev_b64 v[65:66], 4, v[79:80]
	v_add_co_u32 v69, s0, s18, v65
	v_add_co_ci_u32_e64 v70, s0, s19, v66, s0
	s_clause 0x1
	global_load_dwordx4 v[65:68], v[69:70], off offset:1696
	global_load_dwordx4 v[69:72], v[69:70], off offset:1680
	v_cmp_gt_u32_e64 s0, 0x1a4, v0
	s_waitcnt vmcnt(0)
	v_mul_f64 v[78:79], v[63:64], v[71:72]
	v_fma_f64 v[105:106], v[61:62], v[69:70], v[78:79]
	v_mul_f64 v[61:62], v[61:62], v[71:72]
	v_fma_f64 v[69:70], v[63:64], v[69:70], -v[61:62]
	v_mul_f64 v[61:62], v[59:60], v[67:68]
	v_fma_f64 v[71:72], v[57:58], v[65:66], v[61:62]
	v_mul_f64 v[57:58], v[57:58], v[67:68]
	v_fma_f64 v[65:66], v[59:60], v[65:66], -v[57:58]
	v_add_nc_u32_e32 v57, 0xffffffba, v75
	v_cndmask_b32_e64 v97, v57, v85, s0
	v_lshlrev_b32_e32 v79, 1, v97
	v_lshlrev_b64 v[57:58], 4, v[79:80]
	v_add_co_u32 v61, s0, s18, v57
	v_add_co_ci_u32_e64 v62, s0, s19, v58, s0
	s_clause 0x1
	global_load_dwordx4 v[57:60], v[61:62], off offset:1696
	global_load_dwordx4 v[61:64], v[61:62], off offset:1680
	v_cmp_lt_u32_e64 s0, 0x29f, v0
	s_waitcnt vmcnt(0)
	v_mul_f64 v[67:68], v[51:52], v[63:64]
	v_fma_f64 v[67:68], v[49:50], v[61:62], v[67:68]
	v_mul_f64 v[49:50], v[49:50], v[63:64]
	v_fma_f64 v[61:62], v[51:52], v[61:62], -v[49:50]
	v_mul_f64 v[49:50], v[55:56], v[59:60]
	v_fma_f64 v[63:64], v[53:54], v[57:58], v[49:50]
	v_mul_f64 v[49:50], v[53:54], v[59:60]
	v_fma_f64 v[57:58], v[55:56], v[57:58], -v[49:50]
	v_mul_lo_u16 v49, 0x93, v88
	v_lshrrev_b16 v91, 14, v49
	v_mul_lo_u16 v49, 0x70, v91
	v_sub_nc_u16 v49, v88, v49
	v_and_b32_e32 v96, 0xff, v49
	v_lshlrev_b32_e32 v53, 5, v96
	s_clause 0x1
	global_load_dwordx4 v[49:52], v53, s[18:19] offset:1696
	global_load_dwordx4 v[53:56], v53, s[18:19] offset:1680
	s_waitcnt vmcnt(0)
	v_mul_f64 v[59:60], v[47:48], v[55:56]
	v_fma_f64 v[59:60], v[45:46], v[53:54], v[59:60]
	v_mul_f64 v[45:46], v[45:46], v[55:56]
	v_fma_f64 v[53:54], v[47:48], v[53:54], -v[45:46]
	v_mul_f64 v[45:46], v[43:44], v[51:52]
	v_fma_f64 v[55:56], v[41:42], v[49:50], v[45:46]
	v_mul_f64 v[41:42], v[41:42], v[51:52]
	v_fma_f64 v[49:50], v[43:44], v[49:50], -v[41:42]
	v_mul_lo_u16 v41, 0x93, v87
	v_lshrrev_b16 v90, 14, v41
	v_mul_lo_u16 v41, 0x70, v90
	v_sub_nc_u16 v41, v87, v41
	v_and_b32_e32 v94, 0xff, v41
	v_lshlrev_b32_e32 v45, 5, v94
	s_clause 0x1
	global_load_dwordx4 v[41:44], v45, s[18:19] offset:1696
	global_load_dwordx4 v[45:48], v45, s[18:19] offset:1680
	s_waitcnt vmcnt(0)
	v_mul_f64 v[51:52], v[39:40], v[47:48]
	v_fma_f64 v[74:75], v[37:38], v[45:46], v[51:52]
	v_mul_f64 v[37:38], v[37:38], v[47:48]
	v_fma_f64 v[107:108], v[39:40], v[45:46], -v[37:38]
	v_mul_f64 v[37:38], v[35:36], v[43:44]
	v_fma_f64 v[109:110], v[33:34], v[41:42], v[37:38]
	v_mul_f64 v[33:34], v[33:34], v[43:44]
	v_fma_f64 v[111:112], v[35:36], v[41:42], -v[33:34]
	v_mul_u32_u24_e32 v33, 0x24a, v86
	v_lshrrev_b32_e32 v89, 16, v33
	v_mul_lo_u16 v33, 0x70, v89
	v_sub_nc_u16 v33, v86, v33
	v_and_b32_e32 v93, 0xffff, v33
	v_lshlrev_b32_e32 v37, 5, v93
	s_clause 0x1
	global_load_dwordx4 v[33:36], v37, s[18:19] offset:1696
	global_load_dwordx4 v[37:40], v37, s[18:19] offset:1680
	s_mov_b32 s19, 0x31014000
	s_mov_b32 s18, -2
	s_waitcnt vmcnt(0)
	v_mul_f64 v[41:42], v[3:4], v[39:40]
	v_fma_f64 v[113:114], v[1:2], v[37:38], v[41:42]
	v_mul_f64 v[1:2], v[1:2], v[39:40]
	v_fma_f64 v[115:116], v[3:4], v[37:38], -v[1:2]
	v_mul_f64 v[1:2], v[7:8], v[35:36]
	v_add_f64 v[3:4], v[101:102], -v[76:77]
	v_fma_f64 v[117:118], v[5:6], v[33:34], v[1:2]
	v_mul_f64 v[1:2], v[5:6], v[35:36]
	v_fma_f64 v[119:120], v[7:8], v[33:34], -v[1:2]
	v_add_f64 v[1:2], v[29:30], v[99:100]
	v_add_f64 v[7:8], v[69:70], -v[65:66]
	v_add_f64 v[121:122], v[1:2], v[103:104]
	v_add_f64 v[1:2], v[99:100], v[103:104]
	v_fma_f64 v[1:2], v[1:2], -0.5, v[29:30]
	v_add_f64 v[29:30], v[67:68], v[63:64]
	v_fma_f64 v[123:124], v[3:4], s[4:5], v[1:2]
	v_fma_f64 v[78:79], v[3:4], s[6:7], v[1:2]
	v_add_f64 v[1:2], v[31:32], v[101:102]
	v_add_f64 v[3:4], v[99:100], -v[103:104]
	v_add_f64 v[125:126], v[1:2], v[76:77]
	v_add_f64 v[1:2], v[101:102], v[76:77]
	v_fma_f64 v[1:2], v[1:2], -0.5, v[31:32]
	v_fma_f64 v[99:100], v[3:4], s[6:7], v[1:2]
	v_fma_f64 v[80:81], v[3:4], s[4:5], v[1:2]
	v_add_f64 v[3:4], v[105:106], v[71:72]
	v_add_f64 v[1:2], v[25:26], v[105:106]
	v_fma_f64 v[5:6], v[3:4], -0.5, v[25:26]
	v_add_f64 v[1:2], v[1:2], v[71:72]
	v_fma_f64 v[3:4], v[7:8], s[4:5], v[5:6]
	v_fma_f64 v[7:8], v[7:8], s[6:7], v[5:6]
	v_add_f64 v[5:6], v[27:28], v[69:70]
	v_add_f64 v[76:77], v[5:6], v[65:66]
	;; [unrolled: 1-line block ×3, first 2 shown]
	v_fma_f64 v[25:26], v[5:6], -0.5, v[27:28]
	v_add_f64 v[27:28], v[105:106], -v[71:72]
	v_fma_f64 v[5:6], v[27:28], s[6:7], v[25:26]
	v_fma_f64 v[25:26], v[27:28], s[4:5], v[25:26]
	v_add_f64 v[27:28], v[21:22], v[67:68]
	v_fma_f64 v[21:22], v[29:30], -0.5, v[21:22]
	v_add_f64 v[29:30], v[61:62], -v[57:58]
	v_add_f64 v[27:28], v[27:28], v[63:64]
	v_fma_f64 v[31:32], v[29:30], s[4:5], v[21:22]
	v_fma_f64 v[35:36], v[29:30], s[6:7], v[21:22]
	v_add_f64 v[21:22], v[23:24], v[61:62]
	v_add_f64 v[29:30], v[21:22], v[57:58]
	v_add_f64 v[21:22], v[61:62], v[57:58]
	v_fma_f64 v[21:22], v[21:22], -0.5, v[23:24]
	v_add_f64 v[23:24], v[67:68], -v[63:64]
	v_fma_f64 v[33:34], v[23:24], s[6:7], v[21:22]
	v_fma_f64 v[41:42], v[23:24], s[4:5], v[21:22]
	v_add_f64 v[21:22], v[17:18], v[59:60]
	v_add_f64 v[37:38], v[21:22], v[55:56]
	v_add_f64 v[21:22], v[59:60], v[55:56]
	v_fma_f64 v[17:18], v[21:22], -0.5, v[17:18]
	v_add_f64 v[21:22], v[53:54], -v[49:50]
	;; [unrolled: 7-line block ×3, first 2 shown]
	v_fma_f64 v[45:46], v[19:20], s[6:7], v[17:18]
	v_fma_f64 v[49:50], v[19:20], s[4:5], v[17:18]
	v_add_f64 v[17:18], v[13:14], v[74:75]
	v_mul_lo_u32 v19, v73, v92
	v_add_f64 v[51:52], v[17:18], v[109:110]
	v_add_f64 v[17:18], v[74:75], v[109:110]
	v_fma_f64 v[13:14], v[17:18], -0.5, v[13:14]
	v_add_f64 v[17:18], v[107:108], -v[111:112]
	v_fma_f64 v[55:56], v[17:18], s[4:5], v[13:14]
	v_fma_f64 v[59:60], v[17:18], s[6:7], v[13:14]
	v_add_f64 v[13:14], v[15:16], v[107:108]
	v_add_f64 v[53:54], v[13:14], v[111:112]
	v_add_f64 v[13:14], v[107:108], v[111:112]
	v_fma_f64 v[13:14], v[13:14], -0.5, v[15:16]
	v_add_f64 v[15:16], v[74:75], -v[109:110]
	v_fma_f64 v[57:58], v[15:16], s[6:7], v[13:14]
	v_fma_f64 v[61:62], v[15:16], s[4:5], v[13:14]
	v_add_f64 v[13:14], v[9:10], v[113:114]
	v_add_f64 v[63:64], v[13:14], v[117:118]
	v_add_f64 v[13:14], v[113:114], v[117:118]
	v_fma_f64 v[9:10], v[13:14], -0.5, v[9:10]
	v_add_f64 v[13:14], v[115:116], -v[119:120]
	v_fma_f64 v[67:68], v[13:14], s[4:5], v[9:10]
	v_fma_f64 v[71:72], v[13:14], s[6:7], v[9:10]
	v_add_f64 v[9:10], v[11:12], v[115:116]
	v_bfe_u32 v13, v19, 8, 8
	v_lshl_or_b32 v13, v13, 4, 0x1000
	global_load_dwordx4 v[13:16], v13, s[2:3]
	v_add_f64 v[65:66], v[9:10], v[119:120]
	v_add_f64 v[9:10], v[115:116], v[119:120]
	v_fma_f64 v[9:10], v[9:10], -0.5, v[11:12]
	v_add_f64 v[11:12], v[113:114], -v[117:118]
	v_fma_f64 v[69:70], v[11:12], s[6:7], v[9:10]
	v_fma_f64 v[74:75], v[11:12], s[4:5], v[9:10]
	v_lshlrev_b32_sdwa v9, v95, v19 dst_sel:DWORD dst_unused:UNUSED_PAD src0_sel:DWORD src1_sel:BYTE_0
	global_load_dwordx4 v[9:12], v9, s[2:3]
	s_waitcnt vmcnt(0)
	v_mul_f64 v[17:18], v[11:12], v[15:16]
	v_fma_f64 v[17:18], v[9:10], v[13:14], -v[17:18]
	v_mul_f64 v[9:10], v[9:10], v[15:16]
	v_fma_f64 v[13:14], v[11:12], v[13:14], v[9:10]
	v_bfe_u32 v9, v19, 16, 8
	v_lshl_or_b32 v9, v9, 4, 0x2000
	global_load_dwordx4 v[9:12], v9, s[2:3]
	s_waitcnt vmcnt(0)
	v_mul_f64 v[15:16], v[13:14], v[11:12]
	v_mul_f64 v[11:12], v[17:18], v[11:12]
	v_fma_f64 v[15:16], v[9:10], v[17:18], -v[15:16]
	v_fma_f64 v[9:10], v[9:10], v[13:14], v[11:12]
	v_mul_f64 v[11:12], v[125:126], v[9:10]
	v_mul_f64 v[9:10], v[121:122], v[9:10]
	v_fma_f64 v[13:14], v[121:122], v[15:16], v[11:12]
	v_fma_f64 v[15:16], v[125:126], v[15:16], -v[9:10]
	v_add_nc_u32_e32 v9, 0x70, v92
	v_mul_lo_u32 v23, v73, v9
	v_bfe_u32 v17, v23, 8, 8
	v_lshlrev_b32_sdwa v9, v95, v23 dst_sel:DWORD dst_unused:UNUSED_PAD src0_sel:DWORD src1_sel:BYTE_0
	v_lshl_or_b32 v17, v17, 4, 0x1000
	s_clause 0x1
	global_load_dwordx4 v[9:12], v9, s[2:3]
	global_load_dwordx4 v[17:20], v17, s[2:3]
	s_waitcnt vmcnt(0)
	v_mul_f64 v[21:22], v[11:12], v[19:20]
	v_fma_f64 v[21:22], v[9:10], v[17:18], -v[21:22]
	v_mul_f64 v[9:10], v[9:10], v[19:20]
	v_fma_f64 v[17:18], v[11:12], v[17:18], v[9:10]
	v_bfe_u32 v9, v23, 16, 8
	v_lshl_or_b32 v9, v9, 4, 0x2000
	global_load_dwordx4 v[9:12], v9, s[2:3]
	s_waitcnt vmcnt(0)
	v_mul_f64 v[19:20], v[17:18], v[11:12]
	v_mul_f64 v[11:12], v[21:22], v[11:12]
	v_fma_f64 v[19:20], v[9:10], v[21:22], -v[19:20]
	v_fma_f64 v[9:10], v[9:10], v[17:18], v[11:12]
	v_mul_f64 v[11:12], v[99:100], v[9:10]
	v_mul_f64 v[9:10], v[123:124], v[9:10]
	v_fma_f64 v[17:18], v[123:124], v[19:20], v[11:12]
	v_fma_f64 v[19:20], v[99:100], v[19:20], -v[9:10]
	v_add_nc_u32_e32 v9, 0xe0, v92
	v_mul_lo_u32 v101, v73, v9
	v_bfe_u32 v21, v101, 8, 8
	v_lshlrev_b32_sdwa v9, v95, v101 dst_sel:DWORD dst_unused:UNUSED_PAD src0_sel:DWORD src1_sel:BYTE_0
	v_lshl_or_b32 v21, v21, 4, 0x1000
	s_clause 0x1
	global_load_dwordx4 v[9:12], v9, s[2:3]
	global_load_dwordx4 v[21:24], v21, s[2:3]
	s_waitcnt vmcnt(0)
	v_mul_f64 v[99:100], v[11:12], v[23:24]
	v_fma_f64 v[99:100], v[9:10], v[21:22], -v[99:100]
	v_mul_f64 v[9:10], v[9:10], v[23:24]
	v_fma_f64 v[21:22], v[11:12], v[21:22], v[9:10]
	v_bfe_u32 v9, v101, 16, 8
	v_mul_lo_u32 v101, v73, v98
	v_lshl_or_b32 v9, v9, 4, 0x2000
	global_load_dwordx4 v[9:12], v9, s[2:3]
	s_waitcnt vmcnt(0)
	v_mul_f64 v[23:24], v[21:22], v[11:12]
	v_mul_f64 v[11:12], v[99:100], v[11:12]
	v_fma_f64 v[23:24], v[9:10], v[99:100], -v[23:24]
	v_fma_f64 v[9:10], v[9:10], v[21:22], v[11:12]
	v_mul_f64 v[11:12], v[80:81], v[9:10]
	v_mul_f64 v[9:10], v[78:79], v[9:10]
	v_fma_f64 v[21:22], v[78:79], v[23:24], v[11:12]
	v_bfe_u32 v78, v101, 8, 8
	v_fma_f64 v[23:24], v[80:81], v[23:24], -v[9:10]
	v_lshlrev_b32_sdwa v9, v95, v101 dst_sel:DWORD dst_unused:UNUSED_PAD src0_sel:DWORD src1_sel:BYTE_0
	v_lshl_or_b32 v78, v78, 4, 0x1000
	s_clause 0x1
	global_load_dwordx4 v[9:12], v9, s[2:3]
	global_load_dwordx4 v[78:81], v78, s[2:3]
	s_waitcnt vmcnt(0)
	v_mul_f64 v[99:100], v[11:12], v[80:81]
	v_fma_f64 v[99:100], v[9:10], v[78:79], -v[99:100]
	v_mul_f64 v[9:10], v[9:10], v[80:81]
	v_fma_f64 v[78:79], v[11:12], v[78:79], v[9:10]
	v_bfe_u32 v9, v101, 16, 8
	v_lshl_or_b32 v9, v9, 4, 0x2000
	global_load_dwordx4 v[9:12], v9, s[2:3]
	s_waitcnt vmcnt(0)
	v_mul_f64 v[80:81], v[78:79], v[11:12]
	v_mul_f64 v[11:12], v[99:100], v[11:12]
	v_fma_f64 v[80:81], v[9:10], v[99:100], -v[80:81]
	v_fma_f64 v[11:12], v[9:10], v[78:79], v[11:12]
	v_mul_f64 v[9:10], v[76:77], v[11:12]
	v_fma_f64 v[9:10], v[1:2], v[80:81], v[9:10]
	v_mul_f64 v[1:2], v[1:2], v[11:12]
	v_fma_f64 v[11:12], v[76:77], v[80:81], -v[1:2]
	v_add_nc_u32_e32 v1, 0x70, v98
	v_mul_lo_u32 v103, v73, v1
	v_lshlrev_b32_sdwa v1, v95, v103 dst_sel:DWORD dst_unused:UNUSED_PAD src0_sel:DWORD src1_sel:BYTE_0
	global_load_dwordx4 v[76:79], v1, s[2:3]
	v_bfe_u32 v1, v103, 8, 8
	v_lshl_or_b32 v1, v1, 4, 0x1000
	global_load_dwordx4 v[99:102], v1, s[2:3]
	s_waitcnt vmcnt(0)
	v_mul_f64 v[1:2], v[78:79], v[101:102]
	v_fma_f64 v[1:2], v[76:77], v[99:100], -v[1:2]
	v_mul_f64 v[76:77], v[76:77], v[101:102]
	v_fma_f64 v[80:81], v[78:79], v[99:100], v[76:77]
	v_bfe_u32 v76, v103, 16, 8
	v_lshl_or_b32 v76, v76, 4, 0x2000
	global_load_dwordx4 v[76:79], v76, s[2:3]
	s_waitcnt vmcnt(0)
	v_mul_f64 v[99:100], v[80:81], v[78:79]
	v_fma_f64 v[99:100], v[76:77], v[1:2], -v[99:100]
	v_mul_f64 v[1:2], v[1:2], v[78:79]
	v_fma_f64 v[76:77], v[76:77], v[80:81], v[1:2]
	v_mul_f64 v[1:2], v[5:6], v[76:77]
	v_fma_f64 v[1:2], v[3:4], v[99:100], v[1:2]
	v_mul_f64 v[3:4], v[3:4], v[76:77]
	v_fma_f64 v[3:4], v[5:6], v[99:100], -v[3:4]
	v_add_nc_u32_e32 v5, 0xe0, v98
	v_mul_lo_u32 v102, v73, v5
	v_lshlrev_b32_sdwa v5, v95, v102 dst_sel:DWORD dst_unused:UNUSED_PAD src0_sel:DWORD src1_sel:BYTE_0
	global_load_dwordx4 v[76:79], v5, s[2:3]
	v_bfe_u32 v5, v102, 8, 8
	v_lshl_or_b32 v5, v5, 4, 0x1000
	global_load_dwordx4 v[98:101], v5, s[2:3]
	s_waitcnt vmcnt(0)
	v_mul_f64 v[5:6], v[78:79], v[100:101]
	v_fma_f64 v[5:6], v[76:77], v[98:99], -v[5:6]
	v_mul_f64 v[76:77], v[76:77], v[100:101]
	v_fma_f64 v[80:81], v[78:79], v[98:99], v[76:77]
	v_bfe_u32 v76, v102, 16, 8
	v_mul_lo_u32 v102, v73, v97
	v_lshl_or_b32 v76, v76, 4, 0x2000
	global_load_dwordx4 v[76:79], v76, s[2:3]
	s_waitcnt vmcnt(0)
	v_mul_f64 v[98:99], v[80:81], v[78:79]
	v_fma_f64 v[98:99], v[76:77], v[5:6], -v[98:99]
	v_mul_f64 v[5:6], v[5:6], v[78:79]
	v_fma_f64 v[76:77], v[76:77], v[80:81], v[5:6]
	v_mul_f64 v[5:6], v[25:26], v[76:77]
	v_fma_f64 v[5:6], v[7:8], v[98:99], v[5:6]
	v_mul_f64 v[7:8], v[7:8], v[76:77]
	v_fma_f64 v[7:8], v[25:26], v[98:99], -v[7:8]
	v_lshlrev_b32_sdwa v25, v95, v102 dst_sel:DWORD dst_unused:UNUSED_PAD src0_sel:DWORD src1_sel:BYTE_0
	global_load_dwordx4 v[76:79], v25, s[2:3]
	v_bfe_u32 v25, v102, 8, 8
	v_lshl_or_b32 v25, v25, 4, 0x1000
	global_load_dwordx4 v[98:101], v25, s[2:3]
	s_waitcnt vmcnt(0)
	v_mul_f64 v[25:26], v[78:79], v[100:101]
	v_fma_f64 v[25:26], v[76:77], v[98:99], -v[25:26]
	v_mul_f64 v[76:77], v[76:77], v[100:101]
	v_fma_f64 v[80:81], v[78:79], v[98:99], v[76:77]
	v_bfe_u32 v76, v102, 16, 8
	v_lshl_or_b32 v76, v76, 4, 0x2000
	global_load_dwordx4 v[76:79], v76, s[2:3]
	s_waitcnt vmcnt(0)
	v_mul_f64 v[98:99], v[80:81], v[78:79]
	v_fma_f64 v[98:99], v[76:77], v[25:26], -v[98:99]
	v_mul_f64 v[25:26], v[25:26], v[78:79]
	v_fma_f64 v[76:77], v[76:77], v[80:81], v[25:26]
	v_mul_f64 v[25:26], v[29:30], v[76:77]
	v_fma_f64 v[25:26], v[27:28], v[98:99], v[25:26]
	v_mul_f64 v[27:28], v[27:28], v[76:77]
	v_fma_f64 v[27:28], v[29:30], v[98:99], -v[27:28]
	v_add_nc_u32_e32 v29, 0x70, v97
	v_mul_lo_u32 v102, v73, v29
	v_lshlrev_b32_sdwa v29, v95, v102 dst_sel:DWORD dst_unused:UNUSED_PAD src0_sel:DWORD src1_sel:BYTE_0
	global_load_dwordx4 v[76:79], v29, s[2:3]
	v_bfe_u32 v29, v102, 8, 8
	v_lshl_or_b32 v29, v29, 4, 0x1000
	global_load_dwordx4 v[98:101], v29, s[2:3]
	s_waitcnt vmcnt(0)
	v_mul_f64 v[29:30], v[78:79], v[100:101]
	v_fma_f64 v[29:30], v[76:77], v[98:99], -v[29:30]
	v_mul_f64 v[76:77], v[76:77], v[100:101]
	v_fma_f64 v[80:81], v[78:79], v[98:99], v[76:77]
	v_bfe_u32 v76, v102, 16, 8
	v_lshl_or_b32 v76, v76, 4, 0x2000
	global_load_dwordx4 v[76:79], v76, s[2:3]
	s_waitcnt vmcnt(0)
	v_mul_f64 v[98:99], v[80:81], v[78:79]
	v_fma_f64 v[98:99], v[76:77], v[29:30], -v[98:99]
	v_mul_f64 v[29:30], v[29:30], v[78:79]
	v_fma_f64 v[76:77], v[76:77], v[80:81], v[29:30]
	v_mul_f64 v[29:30], v[33:34], v[76:77]
	v_fma_f64 v[29:30], v[31:32], v[98:99], v[29:30]
	v_mul_f64 v[31:32], v[31:32], v[76:77]
	v_fma_f64 v[31:32], v[33:34], v[98:99], -v[31:32]
	v_add_nc_u32_e32 v33, 0xe0, v97
	v_mul_lo_u32 v101, v73, v33
	v_lshlrev_b32_sdwa v33, v95, v101 dst_sel:DWORD dst_unused:UNUSED_PAD src0_sel:DWORD src1_sel:BYTE_0
	global_load_dwordx4 v[76:79], v33, s[2:3]
	v_bfe_u32 v33, v101, 8, 8
	v_lshl_or_b32 v33, v33, 4, 0x1000
	global_load_dwordx4 v[97:100], v33, s[2:3]
	s_waitcnt vmcnt(0)
	v_mul_f64 v[33:34], v[78:79], v[99:100]
	v_fma_f64 v[33:34], v[76:77], v[97:98], -v[33:34]
	v_mul_f64 v[76:77], v[76:77], v[99:100]
	v_fma_f64 v[80:81], v[78:79], v[97:98], v[76:77]
	v_bfe_u32 v76, v101, 16, 8
	v_mul_lo_u32 v101, v73, v96
	v_lshl_or_b32 v76, v76, 4, 0x2000
	global_load_dwordx4 v[76:79], v76, s[2:3]
	s_waitcnt vmcnt(0)
	v_mul_f64 v[97:98], v[80:81], v[78:79]
	v_fma_f64 v[97:98], v[76:77], v[33:34], -v[97:98]
	v_mul_f64 v[33:34], v[33:34], v[78:79]
	v_fma_f64 v[76:77], v[76:77], v[80:81], v[33:34]
	v_mul_f64 v[33:34], v[41:42], v[76:77]
	v_fma_f64 v[33:34], v[35:36], v[97:98], v[33:34]
	v_mul_f64 v[35:36], v[35:36], v[76:77]
	v_fma_f64 v[35:36], v[41:42], v[97:98], -v[35:36]
	v_lshlrev_b32_sdwa v41, v95, v101 dst_sel:DWORD dst_unused:UNUSED_PAD src0_sel:DWORD src1_sel:BYTE_0
	global_load_dwordx4 v[76:79], v41, s[2:3]
	v_bfe_u32 v41, v101, 8, 8
	v_lshl_or_b32 v41, v41, 4, 0x1000
	global_load_dwordx4 v[97:100], v41, s[2:3]
	s_waitcnt vmcnt(0)
	v_mul_f64 v[41:42], v[78:79], v[99:100]
	v_fma_f64 v[41:42], v[76:77], v[97:98], -v[41:42]
	v_mul_f64 v[76:77], v[76:77], v[99:100]
	v_fma_f64 v[80:81], v[78:79], v[97:98], v[76:77]
	v_bfe_u32 v76, v101, 16, 8
	v_lshl_or_b32 v76, v76, 4, 0x2000
	global_load_dwordx4 v[76:79], v76, s[2:3]
	s_waitcnt vmcnt(0)
	v_mul_f64 v[97:98], v[80:81], v[78:79]
	v_fma_f64 v[97:98], v[76:77], v[41:42], -v[97:98]
	v_mul_f64 v[41:42], v[41:42], v[78:79]
	v_fma_f64 v[76:77], v[76:77], v[80:81], v[41:42]
	v_mul_f64 v[41:42], v[43:44], v[76:77]
	v_fma_f64 v[41:42], v[37:38], v[97:98], v[41:42]
	v_mul_f64 v[37:38], v[37:38], v[76:77]
	v_fma_f64 v[43:44], v[43:44], v[97:98], -v[37:38]
	v_add_nc_u32_e32 v37, 0x70, v96
	v_mul_lo_u32 v101, v73, v37
	v_lshlrev_b32_sdwa v37, v95, v101 dst_sel:DWORD dst_unused:UNUSED_PAD src0_sel:DWORD src1_sel:BYTE_0
	global_load_dwordx4 v[76:79], v37, s[2:3]
	v_bfe_u32 v37, v101, 8, 8
	v_lshl_or_b32 v37, v37, 4, 0x1000
	global_load_dwordx4 v[97:100], v37, s[2:3]
	s_waitcnt vmcnt(0)
	v_mul_f64 v[37:38], v[78:79], v[99:100]
	v_fma_f64 v[37:38], v[76:77], v[97:98], -v[37:38]
	v_mul_f64 v[76:77], v[76:77], v[99:100]
	v_fma_f64 v[80:81], v[78:79], v[97:98], v[76:77]
	v_bfe_u32 v76, v101, 16, 8
	v_lshl_or_b32 v76, v76, 4, 0x2000
	global_load_dwordx4 v[76:79], v76, s[2:3]
	s_waitcnt vmcnt(0)
	v_mul_f64 v[97:98], v[80:81], v[78:79]
	v_fma_f64 v[97:98], v[76:77], v[37:38], -v[97:98]
	v_mul_f64 v[37:38], v[37:38], v[78:79]
	v_fma_f64 v[76:77], v[76:77], v[80:81], v[37:38]
	v_mul_f64 v[37:38], v[45:46], v[76:77]
	v_fma_f64 v[37:38], v[39:40], v[97:98], v[37:38]
	v_mul_f64 v[39:40], v[39:40], v[76:77]
	v_fma_f64 v[39:40], v[45:46], v[97:98], -v[39:40]
	v_add_nc_u32_e32 v45, 0xe0, v96
	v_mul_lo_u32 v100, v73, v45
	v_lshlrev_b32_sdwa v45, v95, v100 dst_sel:DWORD dst_unused:UNUSED_PAD src0_sel:DWORD src1_sel:BYTE_0
	global_load_dwordx4 v[76:79], v45, s[2:3]
	v_bfe_u32 v45, v100, 8, 8
	v_lshl_or_b32 v45, v45, 4, 0x1000
	global_load_dwordx4 v[96:99], v45, s[2:3]
	s_waitcnt vmcnt(0)
	v_mul_f64 v[45:46], v[78:79], v[98:99]
	v_fma_f64 v[45:46], v[76:77], v[96:97], -v[45:46]
	v_mul_f64 v[76:77], v[76:77], v[98:99]
	v_fma_f64 v[80:81], v[78:79], v[96:97], v[76:77]
	v_bfe_u32 v76, v100, 16, 8
	v_mul_lo_u32 v100, v73, v94
	v_lshl_or_b32 v76, v76, 4, 0x2000
	global_load_dwordx4 v[76:79], v76, s[2:3]
	s_waitcnt vmcnt(0)
	v_mul_f64 v[96:97], v[80:81], v[78:79]
	v_fma_f64 v[96:97], v[76:77], v[45:46], -v[96:97]
	v_mul_f64 v[45:46], v[45:46], v[78:79]
	v_fma_f64 v[76:77], v[76:77], v[80:81], v[45:46]
	v_mul_f64 v[45:46], v[49:50], v[76:77]
	v_fma_f64 v[45:46], v[47:48], v[96:97], v[45:46]
	v_mul_f64 v[47:48], v[47:48], v[76:77]
	v_fma_f64 v[47:48], v[49:50], v[96:97], -v[47:48]
	v_lshlrev_b32_sdwa v49, v95, v100 dst_sel:DWORD dst_unused:UNUSED_PAD src0_sel:DWORD src1_sel:BYTE_0
	global_load_dwordx4 v[76:79], v49, s[2:3]
	v_bfe_u32 v49, v100, 8, 8
	v_lshl_or_b32 v49, v49, 4, 0x1000
	global_load_dwordx4 v[96:99], v49, s[2:3]
	s_waitcnt vmcnt(0)
	v_mul_f64 v[49:50], v[78:79], v[98:99]
	v_fma_f64 v[49:50], v[76:77], v[96:97], -v[49:50]
	v_mul_f64 v[76:77], v[76:77], v[98:99]
	v_fma_f64 v[80:81], v[78:79], v[96:97], v[76:77]
	v_bfe_u32 v76, v100, 16, 8
	v_lshl_or_b32 v76, v76, 4, 0x2000
	global_load_dwordx4 v[76:79], v76, s[2:3]
	s_waitcnt vmcnt(0)
	v_mul_f64 v[96:97], v[80:81], v[78:79]
	v_fma_f64 v[96:97], v[76:77], v[49:50], -v[96:97]
	v_mul_f64 v[49:50], v[49:50], v[78:79]
	v_fma_f64 v[76:77], v[76:77], v[80:81], v[49:50]
	v_mul_f64 v[49:50], v[53:54], v[76:77]
	v_fma_f64 v[49:50], v[51:52], v[96:97], v[49:50]
	v_mul_f64 v[51:52], v[51:52], v[76:77]
	v_fma_f64 v[51:52], v[53:54], v[96:97], -v[51:52]
	v_add_nc_u32_e32 v53, 0x70, v94
	v_mul_lo_u32 v100, v73, v53
	v_lshlrev_b32_sdwa v53, v95, v100 dst_sel:DWORD dst_unused:UNUSED_PAD src0_sel:DWORD src1_sel:BYTE_0
	global_load_dwordx4 v[76:79], v53, s[2:3]
	v_bfe_u32 v53, v100, 8, 8
	v_lshl_or_b32 v53, v53, 4, 0x1000
	global_load_dwordx4 v[96:99], v53, s[2:3]
	s_waitcnt vmcnt(0)
	v_mul_f64 v[53:54], v[78:79], v[98:99]
	v_fma_f64 v[53:54], v[76:77], v[96:97], -v[53:54]
	v_mul_f64 v[76:77], v[76:77], v[98:99]
	v_fma_f64 v[80:81], v[78:79], v[96:97], v[76:77]
	v_bfe_u32 v76, v100, 16, 8
	v_lshl_or_b32 v76, v76, 4, 0x2000
	global_load_dwordx4 v[76:79], v76, s[2:3]
	s_waitcnt vmcnt(0)
	v_mul_f64 v[96:97], v[80:81], v[78:79]
	v_fma_f64 v[96:97], v[76:77], v[53:54], -v[96:97]
	v_mul_f64 v[53:54], v[53:54], v[78:79]
	v_fma_f64 v[76:77], v[76:77], v[80:81], v[53:54]
	v_mul_f64 v[53:54], v[57:58], v[76:77]
	v_fma_f64 v[53:54], v[55:56], v[96:97], v[53:54]
	v_mul_f64 v[55:56], v[55:56], v[76:77]
	v_fma_f64 v[55:56], v[57:58], v[96:97], -v[55:56]
	v_add_nc_u32_e32 v57, 0xe0, v94
	v_mul_lo_u32 v94, v73, v57
	v_lshlrev_b32_sdwa v57, v95, v94 dst_sel:DWORD dst_unused:UNUSED_PAD src0_sel:DWORD src1_sel:BYTE_0
	global_load_dwordx4 v[76:79], v57, s[2:3]
	v_bfe_u32 v57, v94, 8, 8
	v_lshl_or_b32 v57, v57, 4, 0x1000
	global_load_dwordx4 v[96:99], v57, s[2:3]
	s_waitcnt vmcnt(0)
	v_mul_f64 v[57:58], v[78:79], v[98:99]
	v_fma_f64 v[57:58], v[76:77], v[96:97], -v[57:58]
	v_mul_f64 v[76:77], v[76:77], v[98:99]
	v_fma_f64 v[80:81], v[78:79], v[96:97], v[76:77]
	v_bfe_u32 v76, v94, 16, 8
	v_mul_lo_u32 v94, v73, v93
	v_lshl_or_b32 v76, v76, 4, 0x2000
	global_load_dwordx4 v[76:79], v76, s[2:3]
	s_waitcnt vmcnt(0)
	v_mul_f64 v[96:97], v[80:81], v[78:79]
	v_fma_f64 v[96:97], v[76:77], v[57:58], -v[96:97]
	v_mul_f64 v[57:58], v[57:58], v[78:79]
	v_fma_f64 v[76:77], v[76:77], v[80:81], v[57:58]
	v_mul_f64 v[57:58], v[61:62], v[76:77]
	v_fma_f64 v[57:58], v[59:60], v[96:97], v[57:58]
	v_mul_f64 v[59:60], v[59:60], v[76:77]
	v_fma_f64 v[59:60], v[61:62], v[96:97], -v[59:60]
	v_lshlrev_b32_sdwa v61, v95, v94 dst_sel:DWORD dst_unused:UNUSED_PAD src0_sel:DWORD src1_sel:BYTE_0
	global_load_dwordx4 v[76:79], v61, s[2:3]
	v_bfe_u32 v61, v94, 8, 8
	v_lshl_or_b32 v61, v61, 4, 0x1000
	global_load_dwordx4 v[96:99], v61, s[2:3]
	s_waitcnt vmcnt(0)
	v_mul_f64 v[61:62], v[78:79], v[98:99]
	v_fma_f64 v[61:62], v[76:77], v[96:97], -v[61:62]
	v_mul_f64 v[76:77], v[76:77], v[98:99]
	v_fma_f64 v[80:81], v[78:79], v[96:97], v[76:77]
	v_bfe_u32 v76, v94, 16, 8
	v_lshl_or_b32 v76, v76, 4, 0x2000
	global_load_dwordx4 v[76:79], v76, s[2:3]
	s_waitcnt vmcnt(0)
	v_mul_f64 v[96:97], v[80:81], v[78:79]
	v_fma_f64 v[96:97], v[76:77], v[61:62], -v[96:97]
	v_mul_f64 v[61:62], v[61:62], v[78:79]
	v_fma_f64 v[76:77], v[76:77], v[80:81], v[61:62]
	v_mul_f64 v[61:62], v[65:66], v[76:77]
	v_fma_f64 v[61:62], v[63:64], v[96:97], v[61:62]
	v_mul_f64 v[63:64], v[63:64], v[76:77]
	v_fma_f64 v[63:64], v[65:66], v[96:97], -v[63:64]
	v_add_nc_u32_e32 v65, 0x70, v93
	v_mul_lo_u32 v94, v73, v65
	v_lshlrev_b32_sdwa v65, v95, v94 dst_sel:DWORD dst_unused:UNUSED_PAD src0_sel:DWORD src1_sel:BYTE_0
	global_load_dwordx4 v[76:79], v65, s[2:3]
	v_bfe_u32 v65, v94, 8, 8
	v_lshl_or_b32 v65, v65, 4, 0x1000
	global_load_dwordx4 v[96:99], v65, s[2:3]
	s_waitcnt vmcnt(0)
	v_mul_f64 v[65:66], v[78:79], v[98:99]
	v_fma_f64 v[65:66], v[76:77], v[96:97], -v[65:66]
	v_mul_f64 v[76:77], v[76:77], v[98:99]
	v_fma_f64 v[80:81], v[78:79], v[96:97], v[76:77]
	v_bfe_u32 v76, v94, 16, 8
	v_lshl_or_b32 v76, v76, 4, 0x2000
	global_load_dwordx4 v[76:79], v76, s[2:3]
	s_waitcnt vmcnt(0)
	v_mul_f64 v[96:97], v[80:81], v[78:79]
	v_fma_f64 v[96:97], v[76:77], v[65:66], -v[96:97]
	v_mul_f64 v[65:66], v[65:66], v[78:79]
	v_fma_f64 v[76:77], v[76:77], v[80:81], v[65:66]
	v_mul_f64 v[65:66], v[69:70], v[76:77]
	v_fma_f64 v[65:66], v[67:68], v[96:97], v[65:66]
	v_mul_f64 v[67:68], v[67:68], v[76:77]
	v_fma_f64 v[67:68], v[69:70], v[96:97], -v[67:68]
	v_add_nc_u32_e32 v69, 0xe0, v93
	v_mul_lo_u32 v73, v73, v69
	v_lshlrev_b32_sdwa v69, v95, v73 dst_sel:DWORD dst_unused:UNUSED_PAD src0_sel:DWORD src1_sel:BYTE_0
	global_load_dwordx4 v[76:79], v69, s[2:3]
	v_bfe_u32 v69, v73, 8, 8
	v_bfe_u32 v73, v73, 16, 8
	v_lshl_or_b32 v69, v69, 4, 0x1000
	v_lshl_or_b32 v73, v73, 4, 0x2000
	global_load_dwordx4 v[93:96], v69, s[2:3]
	s_waitcnt vmcnt(0)
	v_mul_f64 v[69:70], v[78:79], v[95:96]
	v_fma_f64 v[97:98], v[76:77], v[93:94], -v[69:70]
	v_mul_f64 v[69:70], v[76:77], v[95:96]
	v_fma_f64 v[69:70], v[78:79], v[93:94], v[69:70]
	global_load_dwordx4 v[78:81], v73, s[2:3]
	v_mul_lo_u32 v73, s10, v83
	s_waitcnt vmcnt(0)
	v_mul_f64 v[76:77], v[69:70], v[80:81]
	v_mul_f64 v[80:81], v[97:98], v[80:81]
	v_fma_f64 v[76:77], v[78:79], v[97:98], -v[76:77]
	v_fma_f64 v[78:79], v[78:79], v[69:70], v[80:81]
	v_mul_f64 v[69:70], v[74:75], v[78:79]
	v_fma_f64 v[69:70], v[71:72], v[76:77], v[69:70]
	v_mul_f64 v[71:72], v[71:72], v[78:79]
	v_fma_f64 v[71:72], v[74:75], v[76:77], -v[71:72]
	v_cndmask_b32_e64 v74, 0, 0x150, s0
	v_cmp_lt_u32_e64 s0, 0x221, v0
	v_add_nc_u32_e32 v74, v92, v74
	v_mul_lo_u32 v75, s8, v74
	v_add_lshl_u32 v75, v73, v75, 4
	v_cndmask_b32_e32 v75, -1, v75, vcc_lo
	buffer_store_dwordx4 v[13:16], v75, s[16:19], s1 offen
	v_add_nc_u32_e32 v13, 0x70, v74
	v_mul_lo_u32 v13, s8, v13
	v_add_lshl_u32 v13, v73, v13, 4
	v_cndmask_b32_e32 v13, -1, v13, vcc_lo
	buffer_store_dwordx4 v[17:20], v13, s[16:19], s1 offen
	;; [unrolled: 5-line block ×3, first 2 shown]
	v_cndmask_b32_e64 v13, 0, 0xe0, s0
	v_cmp_lt_u32_e64 s0, 0x1a3, v0
	v_add_nc_u32_e32 v13, v84, v13
	v_mul_lo_u32 v14, s8, v13
	v_add_lshl_u32 v14, v73, v14, 4
	v_cndmask_b32_e32 v14, -1, v14, vcc_lo
	buffer_store_dwordx4 v[9:12], v14, s[16:19], s1 offen
	v_add_nc_u32_e32 v9, 0x70, v13
	v_mul_lo_u32 v9, s8, v9
	v_add_lshl_u32 v9, v73, v9, 4
	v_cndmask_b32_e32 v9, -1, v9, vcc_lo
	buffer_store_dwordx4 v[1:4], v9, s[16:19], s1 offen
	v_add_nc_u32_e32 v1, 0xe0, v13
	v_mul_lo_u32 v1, s8, v1
	v_add_lshl_u32 v1, v73, v1, 4
	v_cndmask_b32_e32 v1, -1, v1, vcc_lo
	buffer_store_dwordx4 v[5:8], v1, s[16:19], s1 offen
	v_cndmask_b32_e64 v1, 0, 0xe0, s0
	v_cmp_lt_u32_e64 s0, 41, v0
	v_add_nc_u32_e32 v1, v85, v1
	s_or_b32 s0, s0, s21
	v_mul_lo_u32 v2, s8, v1
	v_add_lshl_u32 v2, v73, v2, 4
	v_cndmask_b32_e32 v2, -1, v2, vcc_lo
	buffer_store_dwordx4 v[25:28], v2, s[16:19], s1 offen
	v_add_nc_u32_e32 v2, 0x70, v1
	v_add_nc_u32_e32 v1, 0xe0, v1
	v_mul_lo_u32 v2, s8, v2
	v_mul_lo_u32 v1, s8, v1
	v_add_lshl_u32 v2, v73, v2, 4
	v_add_lshl_u32 v1, v73, v1, 4
	v_cndmask_b32_e32 v2, -1, v2, vcc_lo
	v_cndmask_b32_e32 v1, -1, v1, vcc_lo
	buffer_store_dwordx4 v[29:32], v2, s[16:19], s1 offen
	buffer_store_dwordx4 v[33:36], v1, s[16:19], s1 offen
	v_and_b32_e32 v1, 0xffff, v91
	v_mad_u32_u24 v1, 0xe0, v1, v88
	v_mul_lo_u32 v2, s8, v1
	v_add_lshl_u32 v2, v73, v2, 4
	v_cndmask_b32_e32 v2, -1, v2, vcc_lo
	buffer_store_dwordx4 v[41:44], v2, s[16:19], s1 offen
	v_add_nc_u32_e32 v2, 0x70, v1
	v_add_nc_u32_e32 v1, 0xe0, v1
	v_mul_lo_u32 v2, s8, v2
	v_mul_lo_u32 v1, s8, v1
	v_add_lshl_u32 v2, v73, v2, 4
	v_add_lshl_u32 v1, v73, v1, 4
	v_cndmask_b32_e32 v2, -1, v2, vcc_lo
	v_cndmask_b32_e32 v1, -1, v1, vcc_lo
	buffer_store_dwordx4 v[37:40], v2, s[16:19], s1 offen
	buffer_store_dwordx4 v[45:48], v1, s[16:19], s1 offen
	v_and_b32_e32 v1, 0xffff, v90
	v_mad_u32_u24 v1, 0xe0, v1, v87
	v_mul_lo_u32 v2, s8, v1
	v_add_lshl_u32 v2, v73, v2, 4
	v_cndmask_b32_e32 v2, -1, v2, vcc_lo
	buffer_store_dwordx4 v[49:52], v2, s[16:19], s1 offen
	v_add_nc_u32_e32 v2, 0x70, v1
	v_add_nc_u32_e32 v1, 0xe0, v1
	v_mul_lo_u32 v2, s8, v2
	v_mul_lo_u32 v1, s8, v1
	v_add_lshl_u32 v2, v73, v2, 4
	v_add_lshl_u32 v1, v73, v1, 4
	v_cndmask_b32_e32 v2, -1, v2, vcc_lo
	v_cndmask_b32_e32 v1, -1, v1, vcc_lo
	v_cmp_gt_u32_e32 vcc_lo, 42, v0
	buffer_store_dwordx4 v[53:56], v2, s[16:19], s1 offen
	buffer_store_dwordx4 v[57:60], v1, s[16:19], s1 offen
	v_cndmask_b32_e64 v0, 0, 1, vcc_lo
	v_mad_u32_u24 v1, 0xe0, v89, v86
	v_cndmask_b32_e64 v0, v82, v0, s0
	v_mul_lo_u32 v2, s8, v1
	v_and_b32_e32 v0, 1, v0
	v_cmp_eq_u32_e32 vcc_lo, 1, v0
	v_add_lshl_u32 v0, v73, v2, 4
	v_cndmask_b32_e32 v0, -1, v0, vcc_lo
	buffer_store_dwordx4 v[61:64], v0, s[16:19], s1 offen
	v_add_nc_u32_e32 v0, 0x70, v1
	v_mul_lo_u32 v0, s8, v0
	v_add_lshl_u32 v0, v73, v0, 4
	v_cndmask_b32_e32 v0, -1, v0, vcc_lo
	buffer_store_dwordx4 v[65:68], v0, s[16:19], s1 offen
	v_add_nc_u32_e32 v0, 0xe0, v1
	v_mul_lo_u32 v0, s8, v0
	v_add_lshl_u32 v0, v73, v0, 4
	v_cndmask_b32_e32 v0, -1, v0, vcc_lo
	buffer_store_dwordx4 v[69:72], v0, s[16:19], s1 offen
	s_endpgm
	.section	.rodata,"a",@progbits
	.p2align	6, 0x0
	.amdhsa_kernel fft_rtc_back_len336_factors_7_16_3_wgs_126_tpt_21_dim3_dp_op_CI_CI_sbcc_twdbase8_3step_dirReg_intrinsicReadWrite
		.amdhsa_group_segment_fixed_size 0
		.amdhsa_private_segment_fixed_size 0
		.amdhsa_kernarg_size 104
		.amdhsa_user_sgpr_count 6
		.amdhsa_user_sgpr_private_segment_buffer 1
		.amdhsa_user_sgpr_dispatch_ptr 0
		.amdhsa_user_sgpr_queue_ptr 0
		.amdhsa_user_sgpr_kernarg_segment_ptr 1
		.amdhsa_user_sgpr_dispatch_id 0
		.amdhsa_user_sgpr_flat_scratch_init 0
		.amdhsa_user_sgpr_private_segment_size 0
		.amdhsa_wavefront_size32 1
		.amdhsa_uses_dynamic_stack 0
		.amdhsa_system_sgpr_private_segment_wavefront_offset 0
		.amdhsa_system_sgpr_workgroup_id_x 1
		.amdhsa_system_sgpr_workgroup_id_y 0
		.amdhsa_system_sgpr_workgroup_id_z 0
		.amdhsa_system_sgpr_workgroup_info 0
		.amdhsa_system_vgpr_workitem_id 0
		.amdhsa_next_free_vgpr 136
		.amdhsa_next_free_sgpr 32
		.amdhsa_reserve_vcc 1
		.amdhsa_reserve_flat_scratch 0
		.amdhsa_float_round_mode_32 0
		.amdhsa_float_round_mode_16_64 0
		.amdhsa_float_denorm_mode_32 3
		.amdhsa_float_denorm_mode_16_64 3
		.amdhsa_dx10_clamp 1
		.amdhsa_ieee_mode 1
		.amdhsa_fp16_overflow 0
		.amdhsa_workgroup_processor_mode 1
		.amdhsa_memory_ordered 1
		.amdhsa_forward_progress 0
		.amdhsa_shared_vgpr_count 0
		.amdhsa_exception_fp_ieee_invalid_op 0
		.amdhsa_exception_fp_denorm_src 0
		.amdhsa_exception_fp_ieee_div_zero 0
		.amdhsa_exception_fp_ieee_overflow 0
		.amdhsa_exception_fp_ieee_underflow 0
		.amdhsa_exception_fp_ieee_inexact 0
		.amdhsa_exception_int_div_zero 0
	.end_amdhsa_kernel
	.text
.Lfunc_end0:
	.size	fft_rtc_back_len336_factors_7_16_3_wgs_126_tpt_21_dim3_dp_op_CI_CI_sbcc_twdbase8_3step_dirReg_intrinsicReadWrite, .Lfunc_end0-fft_rtc_back_len336_factors_7_16_3_wgs_126_tpt_21_dim3_dp_op_CI_CI_sbcc_twdbase8_3step_dirReg_intrinsicReadWrite
                                        ; -- End function
	.section	.AMDGPU.csdata,"",@progbits
; Kernel info:
; codeLenInByte = 12484
; NumSgprs: 34
; NumVgprs: 136
; ScratchSize: 0
; MemoryBound: 0
; FloatMode: 240
; IeeeMode: 1
; LDSByteSize: 0 bytes/workgroup (compile time only)
; SGPRBlocks: 4
; VGPRBlocks: 16
; NumSGPRsForWavesPerEU: 34
; NumVGPRsForWavesPerEU: 136
; Occupancy: 7
; WaveLimiterHint : 0
; COMPUTE_PGM_RSRC2:SCRATCH_EN: 0
; COMPUTE_PGM_RSRC2:USER_SGPR: 6
; COMPUTE_PGM_RSRC2:TRAP_HANDLER: 0
; COMPUTE_PGM_RSRC2:TGID_X_EN: 1
; COMPUTE_PGM_RSRC2:TGID_Y_EN: 0
; COMPUTE_PGM_RSRC2:TGID_Z_EN: 0
; COMPUTE_PGM_RSRC2:TIDIG_COMP_CNT: 0
	.text
	.p2alignl 6, 3214868480
	.fill 48, 4, 3214868480
	.type	__hip_cuid_57b78cf570c35516,@object ; @__hip_cuid_57b78cf570c35516
	.section	.bss,"aw",@nobits
	.globl	__hip_cuid_57b78cf570c35516
__hip_cuid_57b78cf570c35516:
	.byte	0                               ; 0x0
	.size	__hip_cuid_57b78cf570c35516, 1

	.ident	"AMD clang version 19.0.0git (https://github.com/RadeonOpenCompute/llvm-project roc-6.4.0 25133 c7fe45cf4b819c5991fe208aaa96edf142730f1d)"
	.section	".note.GNU-stack","",@progbits
	.addrsig
	.addrsig_sym __hip_cuid_57b78cf570c35516
	.amdgpu_metadata
---
amdhsa.kernels:
  - .args:
      - .actual_access:  read_only
        .address_space:  global
        .offset:         0
        .size:           8
        .value_kind:     global_buffer
      - .address_space:  global
        .offset:         8
        .size:           8
        .value_kind:     global_buffer
      - .actual_access:  read_only
        .address_space:  global
        .offset:         16
        .size:           8
        .value_kind:     global_buffer
      - .actual_access:  read_only
        .address_space:  global
        .offset:         24
        .size:           8
        .value_kind:     global_buffer
      - .actual_access:  read_only
        .address_space:  global
        .offset:         32
        .size:           8
        .value_kind:     global_buffer
      - .offset:         40
        .size:           8
        .value_kind:     by_value
      - .actual_access:  read_only
        .address_space:  global
        .offset:         48
        .size:           8
        .value_kind:     global_buffer
      - .actual_access:  read_only
        .address_space:  global
        .offset:         56
        .size:           8
        .value_kind:     global_buffer
      - .offset:         64
        .size:           4
        .value_kind:     by_value
      - .actual_access:  read_only
        .address_space:  global
        .offset:         72
        .size:           8
        .value_kind:     global_buffer
      - .actual_access:  read_only
        .address_space:  global
        .offset:         80
        .size:           8
        .value_kind:     global_buffer
      - .address_space:  global
        .offset:         88
        .size:           8
        .value_kind:     global_buffer
      - .address_space:  global
        .offset:         96
        .size:           8
        .value_kind:     global_buffer
    .group_segment_fixed_size: 0
    .kernarg_segment_align: 8
    .kernarg_segment_size: 104
    .language:       OpenCL C
    .language_version:
      - 2
      - 0
    .max_flat_workgroup_size: 126
    .name:           fft_rtc_back_len336_factors_7_16_3_wgs_126_tpt_21_dim3_dp_op_CI_CI_sbcc_twdbase8_3step_dirReg_intrinsicReadWrite
    .private_segment_fixed_size: 0
    .sgpr_count:     34
    .sgpr_spill_count: 0
    .symbol:         fft_rtc_back_len336_factors_7_16_3_wgs_126_tpt_21_dim3_dp_op_CI_CI_sbcc_twdbase8_3step_dirReg_intrinsicReadWrite.kd
    .uniform_work_group_size: 1
    .uses_dynamic_stack: false
    .vgpr_count:     136
    .vgpr_spill_count: 0
    .wavefront_size: 32
    .workgroup_processor_mode: 1
amdhsa.target:   amdgcn-amd-amdhsa--gfx1030
amdhsa.version:
  - 1
  - 2
...

	.end_amdgpu_metadata
